;; amdgpu-corpus repo=ROCm/rocFFT kind=compiled arch=gfx1201 opt=O3
	.text
	.amdgcn_target "amdgcn-amd-amdhsa--gfx1201"
	.amdhsa_code_object_version 6
	.protected	fft_rtc_fwd_len1352_factors_2_13_13_4_wgs_52_tpt_52_halfLds_dp_ip_CI_sbrr_dirReg ; -- Begin function fft_rtc_fwd_len1352_factors_2_13_13_4_wgs_52_tpt_52_halfLds_dp_ip_CI_sbrr_dirReg
	.globl	fft_rtc_fwd_len1352_factors_2_13_13_4_wgs_52_tpt_52_halfLds_dp_ip_CI_sbrr_dirReg
	.p2align	8
	.type	fft_rtc_fwd_len1352_factors_2_13_13_4_wgs_52_tpt_52_halfLds_dp_ip_CI_sbrr_dirReg,@function
fft_rtc_fwd_len1352_factors_2_13_13_4_wgs_52_tpt_52_halfLds_dp_ip_CI_sbrr_dirReg: ; @fft_rtc_fwd_len1352_factors_2_13_13_4_wgs_52_tpt_52_halfLds_dp_ip_CI_sbrr_dirReg
; %bb.0:
	s_clause 0x2
	s_load_b64 s[12:13], s[0:1], 0x18
	s_load_b128 s[4:7], s[0:1], 0x0
	s_load_b64 s[10:11], s[0:1], 0x50
	v_mul_u32_u24_e32 v1, 0x4ed, v0
	v_mov_b32_e32 v3, 0
	s_delay_alu instid0(VALU_DEP_2) | instskip(NEXT) | instid1(VALU_DEP_1)
	v_lshrrev_b32_e32 v1, 16, v1
	v_add_nc_u32_e32 v5, ttmp9, v1
	v_mov_b32_e32 v1, 0
	v_mov_b32_e32 v2, 0
	;; [unrolled: 1-line block ×3, first 2 shown]
	s_wait_kmcnt 0x0
	s_load_b64 s[8:9], s[12:13], 0x0
	v_cmp_lt_u64_e64 s2, s[6:7], 2
	s_delay_alu instid0(VALU_DEP_1)
	s_and_b32 vcc_lo, exec_lo, s2
	s_cbranch_vccnz .LBB0_8
; %bb.1:
	s_load_b64 s[2:3], s[0:1], 0x10
	v_mov_b32_e32 v1, 0
	v_mov_b32_e32 v2, 0
	s_add_nc_u64 s[14:15], s[12:13], 8
	s_mov_b64 s[16:17], 1
	s_wait_kmcnt 0x0
	s_add_nc_u64 s[18:19], s[2:3], 8
	s_mov_b32 s3, 0
.LBB0_2:                                ; =>This Inner Loop Header: Depth=1
	s_load_b64 s[20:21], s[18:19], 0x0
                                        ; implicit-def: $vgpr7_vgpr8
	s_mov_b32 s2, exec_lo
	s_wait_kmcnt 0x0
	v_or_b32_e32 v4, s21, v6
	s_delay_alu instid0(VALU_DEP_1)
	v_cmpx_ne_u64_e32 0, v[3:4]
	s_wait_alu 0xfffe
	s_xor_b32 s22, exec_lo, s2
	s_cbranch_execz .LBB0_4
; %bb.3:                                ;   in Loop: Header=BB0_2 Depth=1
	s_cvt_f32_u32 s2, s20
	s_cvt_f32_u32 s23, s21
	s_sub_nc_u64 s[26:27], 0, s[20:21]
	s_wait_alu 0xfffe
	s_delay_alu instid0(SALU_CYCLE_1) | instskip(SKIP_1) | instid1(SALU_CYCLE_2)
	s_fmamk_f32 s2, s23, 0x4f800000, s2
	s_wait_alu 0xfffe
	v_s_rcp_f32 s2, s2
	s_delay_alu instid0(TRANS32_DEP_1) | instskip(SKIP_1) | instid1(SALU_CYCLE_2)
	s_mul_f32 s2, s2, 0x5f7ffffc
	s_wait_alu 0xfffe
	s_mul_f32 s23, s2, 0x2f800000
	s_wait_alu 0xfffe
	s_delay_alu instid0(SALU_CYCLE_2) | instskip(SKIP_1) | instid1(SALU_CYCLE_2)
	s_trunc_f32 s23, s23
	s_wait_alu 0xfffe
	s_fmamk_f32 s2, s23, 0xcf800000, s2
	s_cvt_u32_f32 s25, s23
	s_wait_alu 0xfffe
	s_delay_alu instid0(SALU_CYCLE_1) | instskip(SKIP_1) | instid1(SALU_CYCLE_2)
	s_cvt_u32_f32 s24, s2
	s_wait_alu 0xfffe
	s_mul_u64 s[28:29], s[26:27], s[24:25]
	s_wait_alu 0xfffe
	s_mul_hi_u32 s31, s24, s29
	s_mul_i32 s30, s24, s29
	s_mul_hi_u32 s2, s24, s28
	s_mul_i32 s33, s25, s28
	s_wait_alu 0xfffe
	s_add_nc_u64 s[30:31], s[2:3], s[30:31]
	s_mul_hi_u32 s23, s25, s28
	s_mul_hi_u32 s34, s25, s29
	s_add_co_u32 s2, s30, s33
	s_wait_alu 0xfffe
	s_add_co_ci_u32 s2, s31, s23
	s_mul_i32 s28, s25, s29
	s_add_co_ci_u32 s29, s34, 0
	s_wait_alu 0xfffe
	s_add_nc_u64 s[28:29], s[2:3], s[28:29]
	s_wait_alu 0xfffe
	v_add_co_u32 v4, s2, s24, s28
	s_delay_alu instid0(VALU_DEP_1) | instskip(SKIP_1) | instid1(VALU_DEP_1)
	s_cmp_lg_u32 s2, 0
	s_add_co_ci_u32 s25, s25, s29
	v_readfirstlane_b32 s24, v4
	s_wait_alu 0xfffe
	s_delay_alu instid0(VALU_DEP_1)
	s_mul_u64 s[26:27], s[26:27], s[24:25]
	s_wait_alu 0xfffe
	s_mul_hi_u32 s29, s24, s27
	s_mul_i32 s28, s24, s27
	s_mul_hi_u32 s2, s24, s26
	s_mul_i32 s30, s25, s26
	s_wait_alu 0xfffe
	s_add_nc_u64 s[28:29], s[2:3], s[28:29]
	s_mul_hi_u32 s23, s25, s26
	s_mul_hi_u32 s24, s25, s27
	s_wait_alu 0xfffe
	s_add_co_u32 s2, s28, s30
	s_add_co_ci_u32 s2, s29, s23
	s_mul_i32 s26, s25, s27
	s_add_co_ci_u32 s27, s24, 0
	s_wait_alu 0xfffe
	s_add_nc_u64 s[26:27], s[2:3], s[26:27]
	s_wait_alu 0xfffe
	v_add_co_u32 v4, s2, v4, s26
	s_delay_alu instid0(VALU_DEP_1) | instskip(SKIP_1) | instid1(VALU_DEP_1)
	s_cmp_lg_u32 s2, 0
	s_add_co_ci_u32 s2, s25, s27
	v_mul_hi_u32 v13, v5, v4
	s_wait_alu 0xfffe
	v_mad_co_u64_u32 v[7:8], null, v5, s2, 0
	v_mad_co_u64_u32 v[9:10], null, v6, v4, 0
	;; [unrolled: 1-line block ×3, first 2 shown]
	s_delay_alu instid0(VALU_DEP_3) | instskip(SKIP_1) | instid1(VALU_DEP_4)
	v_add_co_u32 v4, vcc_lo, v13, v7
	s_wait_alu 0xfffd
	v_add_co_ci_u32_e32 v7, vcc_lo, 0, v8, vcc_lo
	s_delay_alu instid0(VALU_DEP_2) | instskip(SKIP_1) | instid1(VALU_DEP_2)
	v_add_co_u32 v4, vcc_lo, v4, v9
	s_wait_alu 0xfffd
	v_add_co_ci_u32_e32 v4, vcc_lo, v7, v10, vcc_lo
	s_wait_alu 0xfffd
	v_add_co_ci_u32_e32 v7, vcc_lo, 0, v12, vcc_lo
	s_delay_alu instid0(VALU_DEP_2) | instskip(SKIP_1) | instid1(VALU_DEP_2)
	v_add_co_u32 v4, vcc_lo, v4, v11
	s_wait_alu 0xfffd
	v_add_co_ci_u32_e32 v9, vcc_lo, 0, v7, vcc_lo
	s_delay_alu instid0(VALU_DEP_2) | instskip(SKIP_1) | instid1(VALU_DEP_3)
	v_mul_lo_u32 v10, s21, v4
	v_mad_co_u64_u32 v[7:8], null, s20, v4, 0
	v_mul_lo_u32 v11, s20, v9
	s_delay_alu instid0(VALU_DEP_2) | instskip(NEXT) | instid1(VALU_DEP_2)
	v_sub_co_u32 v7, vcc_lo, v5, v7
	v_add3_u32 v8, v8, v11, v10
	s_delay_alu instid0(VALU_DEP_1) | instskip(SKIP_1) | instid1(VALU_DEP_1)
	v_sub_nc_u32_e32 v10, v6, v8
	s_wait_alu 0xfffd
	v_subrev_co_ci_u32_e64 v10, s2, s21, v10, vcc_lo
	v_add_co_u32 v11, s2, v4, 2
	s_wait_alu 0xf1ff
	v_add_co_ci_u32_e64 v12, s2, 0, v9, s2
	v_sub_co_u32 v13, s2, v7, s20
	v_sub_co_ci_u32_e32 v8, vcc_lo, v6, v8, vcc_lo
	s_wait_alu 0xf1ff
	v_subrev_co_ci_u32_e64 v10, s2, 0, v10, s2
	s_delay_alu instid0(VALU_DEP_3) | instskip(NEXT) | instid1(VALU_DEP_3)
	v_cmp_le_u32_e32 vcc_lo, s20, v13
	v_cmp_eq_u32_e64 s2, s21, v8
	s_wait_alu 0xfffd
	v_cndmask_b32_e64 v13, 0, -1, vcc_lo
	v_cmp_le_u32_e32 vcc_lo, s21, v10
	s_wait_alu 0xfffd
	v_cndmask_b32_e64 v14, 0, -1, vcc_lo
	v_cmp_le_u32_e32 vcc_lo, s20, v7
	;; [unrolled: 3-line block ×3, first 2 shown]
	s_wait_alu 0xfffd
	v_cndmask_b32_e64 v15, 0, -1, vcc_lo
	v_cmp_eq_u32_e32 vcc_lo, s21, v10
	s_wait_alu 0xf1ff
	s_delay_alu instid0(VALU_DEP_2)
	v_cndmask_b32_e64 v7, v15, v7, s2
	s_wait_alu 0xfffd
	v_cndmask_b32_e32 v10, v14, v13, vcc_lo
	v_add_co_u32 v13, vcc_lo, v4, 1
	s_wait_alu 0xfffd
	v_add_co_ci_u32_e32 v14, vcc_lo, 0, v9, vcc_lo
	s_delay_alu instid0(VALU_DEP_3) | instskip(SKIP_2) | instid1(VALU_DEP_3)
	v_cmp_ne_u32_e32 vcc_lo, 0, v10
	s_wait_alu 0xfffd
	v_cndmask_b32_e32 v10, v13, v11, vcc_lo
	v_cndmask_b32_e32 v8, v14, v12, vcc_lo
	v_cmp_ne_u32_e32 vcc_lo, 0, v7
	s_wait_alu 0xfffd
	s_delay_alu instid0(VALU_DEP_2)
	v_dual_cndmask_b32 v7, v4, v10 :: v_dual_cndmask_b32 v8, v9, v8
.LBB0_4:                                ;   in Loop: Header=BB0_2 Depth=1
	s_wait_alu 0xfffe
	s_and_not1_saveexec_b32 s2, s22
	s_cbranch_execz .LBB0_6
; %bb.5:                                ;   in Loop: Header=BB0_2 Depth=1
	v_cvt_f32_u32_e32 v4, s20
	s_sub_co_i32 s22, 0, s20
	s_delay_alu instid0(VALU_DEP_1) | instskip(NEXT) | instid1(TRANS32_DEP_1)
	v_rcp_iflag_f32_e32 v4, v4
	v_mul_f32_e32 v4, 0x4f7ffffe, v4
	s_delay_alu instid0(VALU_DEP_1) | instskip(SKIP_1) | instid1(VALU_DEP_1)
	v_cvt_u32_f32_e32 v4, v4
	s_wait_alu 0xfffe
	v_mul_lo_u32 v7, s22, v4
	s_delay_alu instid0(VALU_DEP_1) | instskip(NEXT) | instid1(VALU_DEP_1)
	v_mul_hi_u32 v7, v4, v7
	v_add_nc_u32_e32 v4, v4, v7
	s_delay_alu instid0(VALU_DEP_1) | instskip(NEXT) | instid1(VALU_DEP_1)
	v_mul_hi_u32 v4, v5, v4
	v_mul_lo_u32 v7, v4, s20
	v_add_nc_u32_e32 v8, 1, v4
	s_delay_alu instid0(VALU_DEP_2) | instskip(NEXT) | instid1(VALU_DEP_1)
	v_sub_nc_u32_e32 v7, v5, v7
	v_subrev_nc_u32_e32 v9, s20, v7
	v_cmp_le_u32_e32 vcc_lo, s20, v7
	s_wait_alu 0xfffd
	s_delay_alu instid0(VALU_DEP_2) | instskip(NEXT) | instid1(VALU_DEP_1)
	v_dual_cndmask_b32 v7, v7, v9 :: v_dual_cndmask_b32 v4, v4, v8
	v_cmp_le_u32_e32 vcc_lo, s20, v7
	s_delay_alu instid0(VALU_DEP_2) | instskip(SKIP_1) | instid1(VALU_DEP_1)
	v_add_nc_u32_e32 v8, 1, v4
	s_wait_alu 0xfffd
	v_dual_cndmask_b32 v7, v4, v8 :: v_dual_mov_b32 v8, v3
.LBB0_6:                                ;   in Loop: Header=BB0_2 Depth=1
	s_wait_alu 0xfffe
	s_or_b32 exec_lo, exec_lo, s2
	s_load_b64 s[22:23], s[14:15], 0x0
	s_delay_alu instid0(VALU_DEP_1)
	v_mul_lo_u32 v4, v8, s20
	v_mul_lo_u32 v11, v7, s21
	v_mad_co_u64_u32 v[9:10], null, v7, s20, 0
	s_add_nc_u64 s[16:17], s[16:17], 1
	s_add_nc_u64 s[14:15], s[14:15], 8
	s_wait_alu 0xfffe
	v_cmp_ge_u64_e64 s2, s[16:17], s[6:7]
	s_add_nc_u64 s[18:19], s[18:19], 8
	s_delay_alu instid0(VALU_DEP_2) | instskip(NEXT) | instid1(VALU_DEP_3)
	v_add3_u32 v4, v10, v11, v4
	v_sub_co_u32 v5, vcc_lo, v5, v9
	s_wait_alu 0xfffd
	s_delay_alu instid0(VALU_DEP_2) | instskip(SKIP_3) | instid1(VALU_DEP_2)
	v_sub_co_ci_u32_e32 v4, vcc_lo, v6, v4, vcc_lo
	s_and_b32 vcc_lo, exec_lo, s2
	s_wait_kmcnt 0x0
	v_mul_lo_u32 v6, s23, v5
	v_mul_lo_u32 v4, s22, v4
	v_mad_co_u64_u32 v[1:2], null, s22, v5, v[1:2]
	s_delay_alu instid0(VALU_DEP_1)
	v_add3_u32 v2, v6, v2, v4
	s_wait_alu 0xfffe
	s_cbranch_vccnz .LBB0_9
; %bb.7:                                ;   in Loop: Header=BB0_2 Depth=1
	v_dual_mov_b32 v5, v7 :: v_dual_mov_b32 v6, v8
	s_branch .LBB0_2
.LBB0_8:
	v_dual_mov_b32 v8, v6 :: v_dual_mov_b32 v7, v5
.LBB0_9:
	s_lshl_b64 s[2:3], s[6:7], 3
	v_mul_hi_u32 v3, 0x4ec4ec5, v0
	s_wait_alu 0xfffe
	s_add_nc_u64 s[2:3], s[12:13], s[2:3]
	s_load_b64 s[0:1], s[0:1], 0x20
	s_load_b64 s[2:3], s[2:3], 0x0
                                        ; implicit-def: $vgpr143
                                        ; implicit-def: $vgpr198
                                        ; implicit-def: $vgpr199
                                        ; implicit-def: $vgpr200
                                        ; implicit-def: $vgpr174
                                        ; implicit-def: $vgpr142
	s_delay_alu instid0(VALU_DEP_1) | instskip(NEXT) | instid1(VALU_DEP_1)
	v_mul_u32_u24_e32 v3, 52, v3
	v_sub_nc_u32_e32 v188, v0, v3
	s_delay_alu instid0(VALU_DEP_1)
	v_add_nc_u32_e32 v193, 52, v188
	v_add_nc_u32_e32 v191, 0x68, v188
	;; [unrolled: 1-line block ×4, first 2 shown]
	s_wait_kmcnt 0x0
	v_cmp_gt_u64_e32 vcc_lo, s[0:1], v[7:8]
	v_mul_lo_u32 v3, s2, v8
	v_mul_lo_u32 v4, s3, v7
	v_mad_co_u64_u32 v[0:1], null, s2, v7, v[1:2]
	v_cmp_le_u64_e64 s0, s[0:1], v[7:8]
	v_add_nc_u32_e32 v190, 0x104, v188
	v_add_nc_u32_e32 v84, 0x1a0, v188
	;; [unrolled: 1-line block ×4, first 2 shown]
	v_add3_u32 v1, v4, v1, v3
	s_and_saveexec_b32 s1, s0
	s_wait_alu 0xfffe
	s_xor_b32 s0, exec_lo, s1
; %bb.10:
	v_add_nc_u32_e32 v143, 52, v188
	v_add_nc_u32_e32 v198, 0x68, v188
	;; [unrolled: 1-line block ×9, first 2 shown]
; %bb.11:
	s_wait_alu 0xfffe
	s_or_saveexec_b32 s1, s0
	v_lshlrev_b64_e32 v[144:145], 4, v[0:1]
	v_add_nc_u32_e32 v197, 0x2a4, v188
	v_add_nc_u32_e32 v196, 0x2d8, v188
	;; [unrolled: 1-line block ×3, first 2 shown]
	v_or_b32_e32 v194, 0x340, v188
                                        ; implicit-def: $vgpr16_vgpr17
                                        ; implicit-def: $vgpr12_vgpr13
                                        ; implicit-def: $vgpr4_vgpr5
                                        ; implicit-def: $vgpr32_vgpr33
                                        ; implicit-def: $vgpr28_vgpr29
                                        ; implicit-def: $vgpr78_vgpr79
                                        ; implicit-def: $vgpr62_vgpr63
                                        ; implicit-def: $vgpr54_vgpr55
                                        ; implicit-def: $vgpr74_vgpr75
                                        ; implicit-def: $vgpr46_vgpr47
                                        ; implicit-def: $vgpr70_vgpr71
                                        ; implicit-def: $vgpr50_vgpr51
                                        ; implicit-def: $vgpr66_vgpr67
                                        ; implicit-def: $vgpr58_vgpr59
                                        ; implicit-def: $vgpr82_vgpr83
                                        ; implicit-def: $vgpr88_vgpr89
                                        ; implicit-def: $vgpr92_vgpr93
                                        ; implicit-def: $vgpr96_vgpr97
                                        ; implicit-def: $vgpr104_vgpr105
                                        ; implicit-def: $vgpr100_vgpr101
                                        ; implicit-def: $vgpr108_vgpr109
                                        ; implicit-def: $vgpr36_vgpr37
                                        ; implicit-def: $vgpr40_vgpr41
                                        ; implicit-def: $vgpr8_vgpr9
                                        ; implicit-def: $vgpr20_vgpr21
                                        ; implicit-def: $vgpr24_vgpr25
	s_wait_alu 0xfffe
	s_xor_b32 exec_lo, exec_lo, s1
	s_cbranch_execz .LBB0_13
; %bb.12:
	v_mad_co_u64_u32 v[0:1], null, s8, v188, 0
	v_mad_co_u64_u32 v[2:3], null, s8, v197, 0
	;; [unrolled: 1-line block ×5, first 2 shown]
	s_delay_alu instid0(VALU_DEP_4) | instskip(NEXT) | instid1(VALU_DEP_4)
	v_mad_co_u64_u32 v[8:9], null, s9, v188, v[1:2]
	v_mad_co_u64_u32 v[9:10], null, s9, v197, v[3:4]
	s_delay_alu instid0(VALU_DEP_4)
	v_mov_b32_e32 v3, v7
	v_mad_co_u64_u32 v[28:29], null, s8, v195, 0
	v_add_nc_u32_e32 v37, 0x374, v188
	v_mov_b32_e32 v1, v8
	v_mad_co_u64_u32 v[7:8], null, s9, v193, v[5:6]
	v_mad_co_u64_u32 v[10:11], null, s9, v196, v[3:4]
	v_mov_b32_e32 v3, v9
	s_delay_alu instid0(VALU_DEP_4)
	v_lshlrev_b64_e32 v[8:9], 4, v[0:1]
	v_add_co_u32 v0, s0, s10, v144
	v_mov_b32_e32 v5, v7
	s_wait_alu 0xf1ff
	v_add_co_ci_u32_e64 v1, s0, s11, v145, s0
	v_dual_mov_b32 v7, v10 :: v_dual_mov_b32 v10, v27
	v_lshlrev_b64_e32 v[2:3], 4, v[2:3]
	v_add_co_u32 v8, s0, v0, v8
	v_lshlrev_b64_e32 v[4:5], 4, v[4:5]
	s_delay_alu instid0(VALU_DEP_4)
	v_mad_co_u64_u32 v[10:11], null, s9, v191, v[10:11]
	v_mov_b32_e32 v11, v29
	s_wait_alu 0xf1ff
	v_add_co_ci_u32_e64 v9, s0, v1, v9, s0
	v_add_co_u32 v2, s0, v0, v2
	v_lshlrev_b64_e32 v[6:7], 4, v[6:7]
	s_wait_alu 0xf1ff
	v_add_co_ci_u32_e64 v3, s0, v1, v3, s0
	v_mad_co_u64_u32 v[29:30], null, s9, v195, v[11:12]
	v_add_co_u32 v4, s0, v0, v4
	v_mad_co_u64_u32 v[30:31], null, s8, v192, 0
	s_wait_alu 0xf1ff
	v_add_co_ci_u32_e64 v5, s0, v1, v5, s0
	v_add_co_u32 v6, s0, v0, v6
	s_wait_alu 0xf1ff
	v_add_co_ci_u32_e64 v7, s0, v1, v7, s0
	v_dual_mov_b32 v27, v10 :: v_dual_add_nc_u32 v142, 0x138, v188
	s_clause 0x3
	global_load_b128 v[22:25], v[8:9], off
	global_load_b128 v[14:17], v[2:3], off
	;; [unrolled: 1-line block ×4, first 2 shown]
	v_lshlrev_b64_e32 v[5:6], 4, v[28:29]
	v_mov_b32_e32 v4, v31
	v_lshlrev_b64_e32 v[2:3], 4, v[26:27]
	v_mad_co_u64_u32 v[26:27], null, s8, v194, 0
	v_mad_co_u64_u32 v[28:29], null, s8, v189, 0
	s_delay_alu instid0(VALU_DEP_4) | instskip(NEXT) | instid1(VALU_DEP_4)
	v_mad_co_u64_u32 v[7:8], null, s9, v192, v[4:5]
	v_add_co_u32 v2, s0, v0, v2
	s_wait_alu 0xf1ff
	v_add_co_ci_u32_e64 v3, s0, v1, v3, s0
	v_add_co_u32 v32, s0, v0, v5
	s_delay_alu instid0(VALU_DEP_4) | instskip(SKIP_3) | instid1(VALU_DEP_3)
	v_dual_mov_b32 v4, v27 :: v_dual_mov_b32 v31, v7
	s_wait_alu 0xf1ff
	v_add_co_ci_u32_e64 v33, s0, v1, v6, s0
	v_mov_b32_e32 v27, v29
	v_mad_co_u64_u32 v[34:35], null, s9, v194, v[4:5]
	s_clause 0x1
	global_load_b128 v[6:9], v[2:3], off
	global_load_b128 v[2:5], v[32:33], off
	v_lshlrev_b64_e32 v[29:30], 4, v[30:31]
	v_mad_co_u64_u32 v[31:32], null, s8, v37, 0
	v_mad_co_u64_u32 v[35:36], null, s9, v189, v[27:28]
	v_mov_b32_e32 v27, v34
	s_delay_alu instid0(VALU_DEP_4) | instskip(SKIP_2) | instid1(VALU_DEP_4)
	v_add_co_u32 v33, s0, v0, v29
	s_wait_alu 0xf1ff
	v_add_co_ci_u32_e64 v34, s0, v1, v30, s0
	v_dual_mov_b32 v30, v32 :: v_dual_mov_b32 v29, v35
	v_mad_co_u64_u32 v[35:36], null, s8, v190, 0
	v_add_nc_u32_e32 v41, 0x3a8, v188
	s_delay_alu instid0(VALU_DEP_3) | instskip(NEXT) | instid1(VALU_DEP_4)
	v_mad_co_u64_u32 v[37:38], null, s9, v37, v[30:31]
	v_lshlrev_b64_e32 v[28:29], 4, v[28:29]
	v_add_nc_u32_e32 v49, 0x3dc, v188
	v_mad_co_u64_u32 v[62:63], null, s8, v42, 0
	v_mov_b32_e32 v30, v36
	v_mov_b32_e32 v174, v190
	;; [unrolled: 1-line block ×3, first 2 shown]
	v_mad_co_u64_u32 v[37:38], null, s8, v41, 0
	s_delay_alu instid0(VALU_DEP_4) | instskip(NEXT) | instid1(VALU_DEP_3)
	v_mad_co_u64_u32 v[39:40], null, s9, v190, v[30:31]
	v_lshlrev_b64_e32 v[30:31], 4, v[31:32]
	v_mov_b32_e32 v200, v189
	v_dual_mov_b32 v198, v191 :: v_dual_mov_b32 v199, v192
	v_dual_mov_b32 v32, v38 :: v_dual_mov_b32 v143, v193
	v_mov_b32_e32 v36, v39
	v_mad_co_u64_u32 v[39:40], null, s8, v142, 0
	s_delay_alu instid0(VALU_DEP_3) | instskip(NEXT) | instid1(VALU_DEP_2)
	v_mad_co_u64_u32 v[44:45], null, s9, v41, v[32:33]
	v_mov_b32_e32 v32, v40
	s_delay_alu instid0(VALU_DEP_2) | instskip(SKIP_2) | instid1(VALU_DEP_4)
	v_mov_b32_e32 v38, v44
	v_lshlrev_b64_e32 v[26:27], 4, v[26:27]
	v_add_nc_u32_e32 v44, 0x410, v188
	v_mad_co_u64_u32 v[40:41], null, s9, v142, v[32:33]
	s_delay_alu instid0(VALU_DEP_3) | instskip(SKIP_1) | instid1(VALU_DEP_4)
	v_add_co_u32 v26, s0, v0, v26
	s_wait_alu 0xf1ff
	v_add_co_ci_u32_e64 v27, s0, v1, v27, s0
	v_add_co_u32 v28, s0, v0, v28
	s_wait_alu 0xf1ff
	v_add_co_ci_u32_e64 v29, s0, v1, v29, s0
	;; [unrolled: 3-line block ×3, first 2 shown]
	v_lshlrev_b64_e32 v[30:31], 4, v[35:36]
	v_mad_co_u64_u32 v[35:36], null, s8, v49, 0
	s_delay_alu instid0(VALU_DEP_2) | instskip(SKIP_1) | instid1(VALU_DEP_3)
	v_add_co_u32 v47, s0, v0, v30
	s_wait_alu 0xf1ff
	v_add_co_ci_u32_e64 v48, s0, v1, v31, s0
	s_delay_alu instid0(VALU_DEP_3) | instskip(SKIP_1) | instid1(VALU_DEP_2)
	v_mov_b32_e32 v32, v36
	v_lshlrev_b64_e32 v[30:31], 4, v[37:38]
	v_mad_co_u64_u32 v[49:50], null, s9, v49, v[32:33]
	v_add_nc_u32_e32 v41, 0x16c, v188
	s_delay_alu instid0(VALU_DEP_3) | instskip(SKIP_1) | instid1(VALU_DEP_4)
	v_add_co_u32 v50, s0, v0, v30
	s_wait_alu 0xf1ff
	v_add_co_ci_u32_e64 v51, s0, v1, v31, s0
	v_lshlrev_b64_e32 v[31:32], 4, v[39:40]
	v_mov_b32_e32 v36, v49
	v_mad_co_u64_u32 v[37:38], null, s8, v41, 0
	v_mad_co_u64_u32 v[39:40], null, s8, v44, 0
	s_delay_alu instid0(VALU_DEP_2) | instskip(NEXT) | instid1(VALU_DEP_1)
	v_dual_mov_b32 v30, v38 :: v_dual_add_nc_u32 v49, 0x478, v188
	v_mad_co_u64_u32 v[52:53], null, s9, v41, v[30:31]
	v_add_co_u32 v53, s0, v0, v31
	s_wait_alu 0xf1ff
	v_add_co_ci_u32_e64 v54, s0, v1, v32, s0
	v_mov_b32_e32 v32, v40
	v_lshlrev_b64_e32 v[30:31], 4, v[35:36]
	v_mad_co_u64_u32 v[35:36], null, s8, v84, 0
	v_mov_b32_e32 v38, v52
	s_delay_alu instid0(VALU_DEP_4)
	v_mad_co_u64_u32 v[40:41], null, s9, v44, v[32:33]
	v_add_nc_u32_e32 v41, 0x444, v188
	v_add_co_u32 v55, s0, v0, v30
	s_wait_alu 0xf1ff
	v_add_co_ci_u32_e64 v56, s0, v1, v31, s0
	v_lshlrev_b64_e32 v[30:31], 4, v[37:38]
	v_mov_b32_e32 v32, v36
	v_mad_co_u64_u32 v[37:38], null, s8, v41, 0
	v_add_nc_u32_e32 v44, 0x1d4, v188
	s_delay_alu instid0(VALU_DEP_3) | instskip(SKIP_1) | instid1(VALU_DEP_4)
	v_mad_co_u64_u32 v[57:58], null, s9, v84, v[32:33]
	v_add_co_u32 v58, s0, v0, v30
	v_mov_b32_e32 v32, v38
	s_wait_alu 0xf1ff
	v_add_co_ci_u32_e64 v59, s0, v1, v31, s0
	v_lshlrev_b64_e32 v[30:31], 4, v[39:40]
	v_mov_b32_e32 v36, v57
	v_mad_co_u64_u32 v[39:40], null, s8, v44, 0
	v_mad_co_u64_u32 v[60:61], null, s9, v41, v[32:33]
	s_delay_alu instid0(VALU_DEP_4)
	v_add_co_u32 v64, s0, v0, v30
	s_wait_alu 0xf1ff
	v_add_co_ci_u32_e64 v65, s0, v1, v31, s0
	v_lshlrev_b64_e32 v[31:32], 4, v[35:36]
	v_mad_co_u64_u32 v[35:36], null, s8, v49, 0
	v_mov_b32_e32 v30, v40
	v_mov_b32_e32 v38, v60
	s_delay_alu instid0(VALU_DEP_4) | instskip(NEXT) | instid1(VALU_DEP_3)
	v_add_co_u32 v66, s0, v0, v31
	v_mad_co_u64_u32 v[40:41], null, s9, v44, v[30:31]
	s_wait_alu 0xf1ff
	v_add_co_ci_u32_e64 v67, s0, v1, v32, s0
	v_lshlrev_b64_e32 v[30:31], 4, v[37:38]
	v_mov_b32_e32 v32, v36
	v_mad_co_u64_u32 v[37:38], null, s8, v43, 0
	v_add_nc_u32_e32 v41, 0x4ac, v188
	v_add_nc_u32_e32 v44, 0x23c, v188
	s_delay_alu instid0(VALU_DEP_4)
	v_mad_co_u64_u32 v[60:61], null, s9, v49, v[32:33]
	v_add_co_u32 v68, s0, v0, v30
	v_mov_b32_e32 v32, v38
	s_wait_alu 0xf1ff
	v_add_co_ci_u32_e64 v69, s0, v1, v31, s0
	v_lshlrev_b64_e32 v[30:31], 4, v[39:40]
	v_mov_b32_e32 v36, v60
	v_mad_co_u64_u32 v[39:40], null, s8, v41, 0
	v_mad_co_u64_u32 v[60:61], null, s9, v43, v[32:33]
	s_delay_alu instid0(VALU_DEP_4)
	v_add_co_u32 v70, s0, v0, v30
	s_wait_alu 0xf1ff
	v_add_co_ci_u32_e64 v71, s0, v1, v31, s0
	v_lshlrev_b64_e32 v[30:31], 4, v[35:36]
	v_mov_b32_e32 v32, v40
	v_mov_b32_e32 v38, v60
	v_mad_co_u64_u32 v[35:36], null, s8, v44, 0
	s_delay_alu instid0(VALU_DEP_4) | instskip(NEXT) | instid1(VALU_DEP_4)
	v_add_co_u32 v80, s0, v0, v30
	v_mad_co_u64_u32 v[40:41], null, s9, v41, v[32:33]
	s_wait_alu 0xf1ff
	v_add_co_ci_u32_e64 v81, s0, v1, v31, s0
	v_lshlrev_b64_e32 v[31:32], 4, v[37:38]
	v_add_nc_u32_e32 v38, 0x4e0, v188
	v_mov_b32_e32 v30, v36
	s_delay_alu instid0(VALU_DEP_2) | instskip(NEXT) | instid1(VALU_DEP_4)
	v_mad_co_u64_u32 v[60:61], null, s8, v38, 0
	v_add_co_u32 v82, s0, v0, v31
	s_wait_alu 0xf1ff
	v_add_co_ci_u32_e64 v83, s0, v1, v32, s0
	v_mad_co_u64_u32 v[36:37], null, s9, v44, v[30:31]
	s_delay_alu instid0(VALU_DEP_4) | instskip(SKIP_2) | instid1(VALU_DEP_3)
	v_mov_b32_e32 v32, v61
	v_lshlrev_b64_e32 v[30:31], 4, v[39:40]
	v_dual_mov_b32 v37, v63 :: v_dual_add_nc_u32 v44, 0x514, v188
	v_mad_co_u64_u32 v[38:39], null, s9, v38, v[32:33]
	s_delay_alu instid0(VALU_DEP_3) | instskip(SKIP_1) | instid1(VALU_DEP_4)
	v_add_co_u32 v110, s0, v0, v30
	s_wait_alu 0xf1ff
	v_add_co_ci_u32_e64 v111, s0, v1, v31, s0
	v_mad_co_u64_u32 v[72:73], null, s8, v44, 0
	s_delay_alu instid0(VALU_DEP_4)
	v_mad_co_u64_u32 v[74:75], null, s9, v42, v[37:38]
	v_mov_b32_e32 v61, v38
	s_clause 0x1
	global_load_b128 v[30:33], v[33:34], off
	global_load_b128 v[38:41], v[26:27], off
	v_lshlrev_b64_e32 v[35:36], 4, v[35:36]
	v_mov_b32_e32 v37, v73
	v_lshlrev_b64_e32 v[60:61], 4, v[60:61]
	v_mov_b32_e32 v63, v74
	s_delay_alu instid0(VALU_DEP_4) | instskip(SKIP_2) | instid1(VALU_DEP_4)
	v_add_co_u32 v112, s0, v0, v35
	s_wait_alu 0xf1ff
	v_add_co_ci_u32_e64 v113, s0, v1, v36, s0
	v_add_co_u32 v114, s0, v0, v60
	s_wait_alu 0xf1ff
	v_add_co_ci_u32_e64 v115, s0, v1, v61, s0
	s_wait_loadcnt 0x0
	v_mad_co_u64_u32 v[73:74], null, s9, v44, v[37:38]
	s_clause 0x1
	global_load_b128 v[34:37], v[28:29], off
	global_load_b128 v[26:29], v[45:46], off
	v_lshlrev_b64_e32 v[44:45], 4, v[62:63]
	v_lshlrev_b64_e32 v[60:61], 4, v[72:73]
	s_delay_alu instid0(VALU_DEP_2) | instskip(SKIP_1) | instid1(VALU_DEP_3)
	v_add_co_u32 v116, s0, v0, v44
	s_wait_alu 0xf1ff
	v_add_co_ci_u32_e64 v117, s0, v1, v45, s0
	s_delay_alu instid0(VALU_DEP_3)
	v_add_co_u32 v0, s0, v0, v60
	s_wait_alu 0xf1ff
	v_add_co_ci_u32_e64 v1, s0, v1, v61, s0
	s_clause 0xf
	global_load_b128 v[76:79], v[47:48], off
	global_load_b128 v[106:109], v[50:51], off
	;; [unrolled: 1-line block ×16, first 2 shown]
.LBB0_13:
	s_or_b32 exec_lo, exec_lo, s1
	v_add_f64_e64 v[112:113], v[22:23], -v[14:15]
	v_add_f64_e64 v[120:121], v[24:25], -v[16:17]
	;; [unrolled: 1-line block ×4, first 2 shown]
	v_lshl_add_u32 v126, v188, 4, 0
	v_lshl_add_u32 v127, v143, 4, 0
	v_lshl_add_u32 v170, v198, 4, 0
	v_lshl_add_u32 v128, v199, 4, 0
	v_lshl_add_u32 v171, v200, 4, 0
	v_lshl_add_u32 v150, v142, 4, 0
	v_add_f64_e64 v[124:125], v[12:13], -v[20:21]
	v_lshlrev_b32_e32 v152, 3, v200
	v_lshlrev_b32_e32 v155, 3, v142
	;; [unrolled: 1-line block ×3, first 2 shown]
	v_lshl_add_u32 v175, v188, 3, 0
	v_lshl_add_u32 v180, v143, 3, 0
	v_sub_nc_u32_e32 v154, v171, v152
	v_sub_nc_u32_e32 v149, v150, v155
	;; [unrolled: 1-line block ×3, first 2 shown]
	v_add_nc_u32_e32 v203, 0x1000, v175
	v_add_nc_u32_e32 v201, 0x1800, v175
	;; [unrolled: 1-line block ×6, first 2 shown]
	s_wait_loadcnt 0x8
	v_add_f64_e64 v[74:75], v[96:97], -v[74:75]
	s_mov_b32 s42, 0x4267c47c
	s_mov_b32 s26, 0x42a4c3d2
	;; [unrolled: 1-line block ×12, first 2 shown]
	v_fma_f64 v[110:111], v[22:23], 2.0, -v[112:113]
	v_fma_f64 v[118:119], v[24:25], 2.0, -v[120:121]
	;; [unrolled: 1-line block ×4, first 2 shown]
	v_add_f64_e64 v[6:7], v[8:9], -v[4:5]
	s_mov_b32 s12, 0xe00740e9
	s_mov_b32 s6, 0x1ea71119
	;; [unrolled: 1-line block ×5, first 2 shown]
	v_fma_f64 v[122:123], v[12:13], 2.0, -v[124:125]
	s_mov_b32 s20, 0x93053d00
	s_mov_b32 s13, 0x3fec55a7
	s_mov_b32 s7, 0x3fe22d96
	s_mov_b32 s3, 0x3fbedb7d
	s_mov_b32 s15, 0xbfd6b1d8
	s_mov_b32 s17, 0xbfe7f3cc
	s_mov_b32 s21, 0xbfef11f4
	s_mov_b32 s45, 0x3fedeba7
	s_mov_b32 s44, s18
	s_mov_b32 s37, 0x3fe5384d
	s_wait_alu 0xfffe
	s_mov_b32 s36, s22
	s_mov_b32 s31, 0x3fddbe06
	;; [unrolled: 1-line block ×9, first 2 shown]
	v_cmp_gt_u32_e64 s0, 26, v188
	ds_store_b128 v126, v[110:113]
	ds_store_b128 v127, v[14:17]
	;; [unrolled: 1-line block ×3, first 2 shown]
	v_add_f64_e64 v[2:3], v[30:31], -v[38:39]
	v_fma_f64 v[4:5], v[8:9], 2.0, -v[6:7]
	s_delay_alu instid0(VALU_DEP_2) | instskip(SKIP_2) | instid1(VALU_DEP_1)
	v_fma_f64 v[0:1], v[30:31], 2.0, -v[2:3]
	ds_store_b128 v128, v[0:3]
	v_add_f64_e64 v[2:3], v[34:35], -v[26:27]
	v_fma_f64 v[0:1], v[34:35], 2.0, -v[2:3]
	ds_store_b128 v171, v[0:3]
	v_add_f64_e64 v[2:3], v[76:77], -v[106:107]
	v_lshl_add_u32 v106, v174, 4, 0
	s_delay_alu instid0(VALU_DEP_2) | instskip(SKIP_2) | instid1(VALU_DEP_1)
	v_fma_f64 v[0:1], v[76:77], 2.0, -v[2:3]
	ds_store_b128 v106, v[0:3]
	v_add_f64_e64 v[2:3], v[98:99], -v[60:61]
	v_fma_f64 v[0:1], v[98:99], 2.0, -v[2:3]
	ds_store_b128 v150, v[0:3]
	v_add_f64_e64 v[2:3], v[52:53], -v[102:103]
	s_delay_alu instid0(VALU_DEP_1) | instskip(SKIP_3) | instid1(VALU_DEP_2)
	v_fma_f64 v[0:1], v[52:53], 2.0, -v[2:3]
	ds_store_b128 v126, v[0:3] offset:5824
	v_add_f64_e64 v[2:3], v[94:95], -v[72:73]
	v_fma_f64 v[72:73], v[96:97], 2.0, -v[74:75]
	v_fma_f64 v[0:1], v[94:95], 2.0, -v[2:3]
	v_lshl_add_u32 v94, v84, 4, 0
	ds_store_b128 v94, v[0:3]
	s_wait_loadcnt 0x6
	v_add_f64_e64 v[2:3], v[44:45], -v[90:91]
	s_delay_alu instid0(VALU_DEP_1) | instskip(SKIP_4) | instid1(VALU_DEP_2)
	v_fma_f64 v[0:1], v[44:45], 2.0, -v[2:3]
	ds_store_b128 v126, v[0:3] offset:7488
	s_wait_loadcnt 0x4
	v_add_f64_e64 v[2:3], v[86:87], -v[68:69]
	v_lshl_add_u32 v68, v43, 4, 0
	v_fma_f64 v[0:1], v[86:87], 2.0, -v[2:3]
	ds_store_b128 v68, v[0:3]
	s_wait_loadcnt 0x2
	v_add_f64_e64 v[2:3], v[48:49], -v[80:81]
	v_add_f64_e64 v[80:81], v[78:79], -v[108:109]
	v_and_b32_e32 v108, 1, v188
	s_delay_alu instid0(VALU_DEP_3) | instskip(NEXT) | instid1(VALU_DEP_3)
	v_fma_f64 v[0:1], v[48:49], 2.0, -v[2:3]
	v_fma_f64 v[78:79], v[78:79], 2.0, -v[80:81]
	ds_store_b128 v126, v[0:3] offset:9152
	s_wait_loadcnt 0x0
	v_add_f64_e64 v[2:3], v[56:57], -v[64:65]
	v_lshl_add_u32 v64, v42, 4, 0
	s_delay_alu instid0(VALU_DEP_2)
	v_fma_f64 v[0:1], v[56:57], 2.0, -v[2:3]
	ds_store_b128 v64, v[0:3]
	v_lshlrev_b32_e32 v0, 3, v84
	v_lshlrev_b32_e32 v1, 3, v43
	;; [unrolled: 1-line block ×3, first 2 shown]
	global_wb scope:SCOPE_SE
	s_wait_dscnt 0x0
	s_barrier_signal -1
	v_sub_nc_u32_e32 v146, v94, v0
	v_sub_nc_u32_e32 v147, v68, v1
	;; [unrolled: 1-line block ×3, first 2 shown]
	s_barrier_wait -1
	global_inv scope:SCOPE_SE
	ds_load_b64 v[38:39], v154
	ds_load_b64 v[52:53], v149
	;; [unrolled: 1-line block ×7, first 2 shown]
	ds_load_b64 v[76:77], v175 offset:10400
	ds_load_2addr_b64 v[0:3], v175 offset1:156
	ds_load_2addr_b64 v[84:87], v203 offset0:164 offset1:216
	ds_load_2addr_b64 v[42:45], v201 offset0:12 offset1:64
	ds_load_2addr_b64 v[24:27], v201 offset0:116 offset1:168
	ds_load_2addr_b64 v[20:23], v176 offset0:92 offset1:144
	ds_load_2addr_b64 v[16:19], v202 offset0:68 offset1:120
	ds_load_2addr_b64 v[12:15], v202 offset0:172 offset1:224
	ds_load_2addr_b64 v[114:117], v204 offset0:4 offset1:108
	ds_load_2addr_b64 v[110:113], v156 offset0:84 offset1:188
	global_wb scope:SCOPE_SE
	s_wait_dscnt 0x0
	s_barrier_signal -1
	s_barrier_wait -1
	global_inv scope:SCOPE_SE
	ds_store_b128 v126, v[118:121]
	ds_store_b128 v127, v[122:125]
	v_add_f64_e64 v[120:121], v[32:33], -v[40:41]
	s_delay_alu instid0(VALU_DEP_1) | instskip(SKIP_3) | instid1(VALU_DEP_1)
	v_fma_f64 v[118:119], v[32:33], 2.0, -v[120:121]
	ds_store_b128 v170, v[4:7]
	ds_store_b128 v128, v[118:121]
	v_add_f64_e64 v[6:7], v[36:37], -v[28:29]
	v_fma_f64 v[4:5], v[36:37], 2.0, -v[6:7]
	ds_store_b128 v171, v[4:7]
	ds_store_b128 v106, v[78:81]
	v_add_f64_e64 v[6:7], v[100:101], -v[62:63]
	v_add_f64_e64 v[62:63], v[54:55], -v[104:105]
	s_delay_alu instid0(VALU_DEP_2) | instskip(NEXT) | instid1(VALU_DEP_2)
	v_fma_f64 v[4:5], v[100:101], 2.0, -v[6:7]
	v_fma_f64 v[60:61], v[54:55], 2.0, -v[62:63]
	ds_store_b128 v150, v[4:7]
	ds_store_b128 v126, v[60:63] offset:5824
	ds_store_b128 v94, v[72:75]
	v_add_f64_e64 v[6:7], v[46:47], -v[92:93]
	v_add_f64_e64 v[62:63], v[88:89], -v[70:71]
	s_delay_alu instid0(VALU_DEP_2) | instskip(NEXT) | instid1(VALU_DEP_2)
	v_fma_f64 v[4:5], v[46:47], 2.0, -v[6:7]
	v_fma_f64 v[60:61], v[88:89], 2.0, -v[62:63]
	ds_store_b128 v126, v[4:7] offset:7488
	ds_store_b128 v68, v[60:63]
	v_add_f64_e64 v[6:7], v[50:51], -v[82:83]
	s_delay_alu instid0(VALU_DEP_1) | instskip(SKIP_2) | instid1(VALU_DEP_1)
	v_fma_f64 v[4:5], v[50:51], 2.0, -v[6:7]
	ds_store_b128 v126, v[4:7] offset:9152
	v_add_f64_e64 v[6:7], v[58:59], -v[66:67]
	v_fma_f64 v[4:5], v[58:59], 2.0, -v[6:7]
	ds_store_b128 v64, v[4:7]
	v_mul_u32_u24_e32 v4, 12, v108
	global_wb scope:SCOPE_SE
	s_wait_dscnt 0x0
	s_barrier_signal -1
	s_barrier_wait -1
	global_inv scope:SCOPE_SE
	v_lshlrev_b32_e32 v8, 4, v4
	ds_load_b64 v[28:29], v154
	ds_load_b64 v[104:105], v153
	s_clause 0x1
	global_load_b128 v[58:61], v8, s[4:5] offset:16
	global_load_b128 v[4:7], v8, s[4:5]
	ds_load_2addr_b64 v[62:65], v204 offset0:4 offset1:108
	s_wait_loadcnt_dscnt 0x102
	v_mul_f64_e32 v[32:33], v[28:29], v[60:61]
	s_delay_alu instid0(VALU_DEP_1) | instskip(SKIP_1) | instid1(VALU_DEP_1)
	v_fma_f64 v[80:81], v[38:39], v[58:59], -v[32:33]
	v_mul_f64_e32 v[32:33], v[38:39], v[60:61]
	v_fma_f64 v[28:29], v[28:29], v[58:59], v[32:33]
	s_wait_dscnt 0x0
	v_mul_f64_e32 v[32:33], v[62:63], v[60:61]
	s_delay_alu instid0(VALU_DEP_1) | instskip(SKIP_1) | instid1(VALU_DEP_1)
	v_fma_f64 v[36:37], v[114:115], v[58:59], -v[32:33]
	v_mul_f64_e32 v[32:33], v[114:115], v[60:61]
	v_fma_f64 v[40:41], v[62:63], v[58:59], v[32:33]
	s_clause 0x1
	global_load_b128 v[58:61], v8, s[4:5] offset:32
	global_load_b128 v[66:69], v8, s[4:5] offset:48
	s_wait_loadcnt 0x1
	v_mul_f64_e32 v[32:33], v[64:65], v[60:61]
	s_delay_alu instid0(VALU_DEP_1) | instskip(SKIP_1) | instid1(VALU_DEP_1)
	v_fma_f64 v[46:47], v[116:117], v[58:59], -v[32:33]
	v_mul_f64_e32 v[32:33], v[116:117], v[60:61]
	v_fma_f64 v[38:39], v[64:65], v[58:59], v[32:33]
	ds_load_b64 v[32:33], v149
	ds_load_b64 v[50:51], v146
	;; [unrolled: 1-line block ×4, first 2 shown]
	s_wait_dscnt 0x3
	v_mul_f64_e32 v[54:55], v[32:33], v[60:61]
	s_delay_alu instid0(VALU_DEP_1) | instskip(SKIP_3) | instid1(VALU_DEP_2)
	v_fma_f64 v[82:83], v[52:53], v[58:59], -v[54:55]
	v_mul_f64_e32 v[52:53], v[52:53], v[60:61]
	s_wait_loadcnt 0x0
	v_mul_f64_e32 v[54:55], v[110:111], v[68:69]
	v_fma_f64 v[78:79], v[32:33], v[58:59], v[52:53]
	s_wait_dscnt 0x2
	v_mul_f64_e32 v[32:33], v[50:51], v[68:69]
	s_delay_alu instid0(VALU_DEP_1) | instskip(SKIP_1) | instid1(VALU_DEP_1)
	v_fma_f64 v[90:91], v[48:49], v[66:67], -v[32:33]
	v_mul_f64_e32 v[32:33], v[48:49], v[68:69]
	v_fma_f64 v[32:33], v[50:51], v[66:67], v[32:33]
	ds_load_2addr_b64 v[48:51], v156 offset0:84 offset1:188
	s_clause 0x1
	global_load_b128 v[58:61], v8, s[4:5] offset:64
	global_load_b128 v[62:65], v8, s[4:5] offset:80
	s_wait_dscnt 0x0
	v_mul_f64_e32 v[52:53], v[48:49], v[68:69]
	v_fma_f64 v[48:49], v[48:49], v[66:67], v[54:55]
	s_delay_alu instid0(VALU_DEP_2) | instskip(SKIP_3) | instid1(VALU_DEP_2)
	v_fma_f64 v[52:53], v[110:111], v[66:67], -v[52:53]
	s_wait_loadcnt 0x1
	v_mul_f64_e32 v[66:67], v[112:113], v[60:61]
	v_mul_f64_e32 v[54:55], v[50:51], v[60:61]
	v_fma_f64 v[50:51], v[50:51], v[58:59], v[66:67]
	v_mul_f64_e32 v[66:67], v[70:71], v[60:61]
	s_delay_alu instid0(VALU_DEP_3) | instskip(NEXT) | instid1(VALU_DEP_2)
	v_fma_f64 v[54:55], v[112:113], v[58:59], -v[54:55]
	v_fma_f64 v[94:95], v[56:57], v[58:59], -v[66:67]
	v_mul_f64_e32 v[56:57], v[56:57], v[60:61]
	ds_load_2addr_b64 v[66:69], v203 offset0:164 offset1:216
	v_fma_f64 v[88:89], v[70:71], v[58:59], v[56:57]
	s_wait_loadcnt 0x0
	v_mul_f64_e32 v[56:57], v[72:73], v[64:65]
	s_delay_alu instid0(VALU_DEP_1) | instskip(SKIP_1) | instid1(VALU_DEP_1)
	v_fma_f64 v[96:97], v[10:11], v[62:63], -v[56:57]
	v_mul_f64_e32 v[9:10], v[10:11], v[64:65]
	v_fma_f64 v[92:93], v[72:73], v[62:63], v[9:10]
	s_wait_dscnt 0x0
	v_mul_f64_e32 v[9:10], v[66:67], v[64:65]
	s_delay_alu instid0(VALU_DEP_1) | instskip(SKIP_1) | instid1(VALU_DEP_1)
	v_fma_f64 v[58:59], v[84:85], v[62:63], -v[9:10]
	v_mul_f64_e32 v[9:10], v[84:85], v[64:65]
	v_fma_f64 v[56:57], v[66:67], v[62:63], v[9:10]
	s_clause 0x1
	global_load_b128 v[62:65], v8, s[4:5] offset:96
	global_load_b128 v[70:73], v8, s[4:5] offset:112
	s_wait_loadcnt 0x1
	v_mul_f64_e32 v[9:10], v[68:69], v[64:65]
	s_delay_alu instid0(VALU_DEP_1) | instskip(SKIP_1) | instid1(VALU_DEP_2)
	v_fma_f64 v[98:99], v[86:87], v[62:63], -v[9:10]
	v_mul_f64_e32 v[9:10], v[86:87], v[64:65]
	v_add_f64_e32 v[225:226], v[96:97], v[98:99]
	s_delay_alu instid0(VALU_DEP_2) | instskip(SKIP_3) | instid1(VALU_DEP_1)
	v_fma_f64 v[84:85], v[68:69], v[62:63], v[9:10]
	ds_load_2addr_b64 v[66:69], v201 offset0:12 offset1:64
	s_wait_dscnt 0x0
	v_mul_f64_e32 v[9:10], v[66:67], v[64:65]
	v_fma_f64 v[60:61], v[42:43], v[62:63], -v[9:10]
	v_mul_f64_e32 v[9:10], v[42:43], v[64:65]
	s_delay_alu instid0(VALU_DEP_1)
	v_fma_f64 v[42:43], v[66:67], v[62:63], v[9:10]
	s_wait_loadcnt 0x0
	v_mul_f64_e32 v[9:10], v[68:69], v[72:73]
	ds_load_2addr_b64 v[64:67], v201 offset0:116 offset1:168
	v_fma_f64 v[100:101], v[44:45], v[70:71], -v[9:10]
	v_mul_f64_e32 v[9:10], v[44:45], v[72:73]
	s_delay_alu instid0(VALU_DEP_2) | instskip(NEXT) | instid1(VALU_DEP_2)
	v_add_f64_e32 v[217:218], v[94:95], v[100:101]
	v_fma_f64 v[86:87], v[68:69], v[70:71], v[9:10]
	s_wait_dscnt 0x0
	v_mul_f64_e32 v[9:10], v[64:65], v[72:73]
	s_delay_alu instid0(VALU_DEP_1) | instskip(SKIP_1) | instid1(VALU_DEP_1)
	v_fma_f64 v[62:63], v[24:25], v[70:71], -v[9:10]
	v_mul_f64_e32 v[9:10], v[24:25], v[72:73]
	v_fma_f64 v[44:45], v[64:65], v[70:71], v[9:10]
	s_clause 0x1
	global_load_b128 v[68:71], v8, s[4:5] offset:128
	global_load_b128 v[72:75], v8, s[4:5] offset:144
	ds_load_2addr_b64 v[109:112], v176 offset0:92 offset1:144
	s_wait_loadcnt 0x1
	v_mul_f64_e32 v[9:10], v[66:67], v[70:71]
	s_delay_alu instid0(VALU_DEP_1) | instskip(SKIP_1) | instid1(VALU_DEP_2)
	v_fma_f64 v[102:103], v[26:27], v[68:69], -v[9:10]
	v_mul_f64_e32 v[9:10], v[26:27], v[70:71]
	v_add_f64_e32 v[209:210], v[90:91], v[102:103]
	s_delay_alu instid0(VALU_DEP_2) | instskip(SKIP_2) | instid1(VALU_DEP_1)
	v_fma_f64 v[24:25], v[66:67], v[68:69], v[9:10]
	s_wait_dscnt 0x0
	v_mul_f64_e32 v[9:10], v[109:110], v[70:71]
	v_fma_f64 v[66:67], v[20:21], v[68:69], -v[9:10]
	v_mul_f64_e32 v[9:10], v[20:21], v[70:71]
	s_delay_alu instid0(VALU_DEP_1) | instskip(SKIP_2) | instid1(VALU_DEP_1)
	v_fma_f64 v[64:65], v[109:110], v[68:69], v[9:10]
	s_wait_loadcnt 0x0
	v_mul_f64_e32 v[9:10], v[111:112], v[74:75]
	v_fma_f64 v[26:27], v[22:23], v[72:73], -v[9:10]
	v_mul_f64_e32 v[9:10], v[22:23], v[74:75]
	s_delay_alu instid0(VALU_DEP_2) | instskip(NEXT) | instid1(VALU_DEP_2)
	v_add_f64_e32 v[183:184], v[82:83], v[26:27]
	v_fma_f64 v[20:21], v[111:112], v[72:73], v[9:10]
	ds_load_2addr_b64 v[109:112], v202 offset0:68 offset1:120
	s_wait_dscnt 0x0
	v_mul_f64_e32 v[9:10], v[109:110], v[74:75]
	s_delay_alu instid0(VALU_DEP_1) | instskip(SKIP_1) | instid1(VALU_DEP_1)
	v_fma_f64 v[70:71], v[16:17], v[72:73], -v[9:10]
	v_mul_f64_e32 v[9:10], v[16:17], v[74:75]
	v_fma_f64 v[68:69], v[109:110], v[72:73], v[9:10]
	s_clause 0x1
	global_load_b128 v[113:116], v8, s[4:5] offset:160
	global_load_b128 v[8:11], v8, s[4:5] offset:176
	s_wait_loadcnt 0x1
	v_mul_f64_e32 v[16:17], v[111:112], v[115:116]
	s_delay_alu instid0(VALU_DEP_1) | instskip(SKIP_1) | instid1(VALU_DEP_1)
	v_fma_f64 v[22:23], v[18:19], v[113:114], -v[16:17]
	v_mul_f64_e32 v[16:17], v[18:19], v[115:116]
	v_fma_f64 v[16:17], v[111:112], v[113:114], v[16:17]
	ds_load_2addr_b64 v[109:112], v202 offset0:172 offset1:224
	s_wait_dscnt 0x0
	v_mul_f64_e32 v[18:19], v[109:110], v[115:116]
	s_delay_alu instid0(VALU_DEP_1) | instskip(SKIP_1) | instid1(VALU_DEP_1)
	v_fma_f64 v[72:73], v[12:13], v[113:114], -v[18:19]
	v_mul_f64_e32 v[12:13], v[12:13], v[115:116]
	v_fma_f64 v[74:75], v[109:110], v[113:114], v[12:13]
	s_wait_loadcnt 0x0
	v_mul_f64_e32 v[12:13], v[111:112], v[10:11]
	v_lshrrev_b32_e32 v113, 1, v188
	s_delay_alu instid0(VALU_DEP_1) | instskip(NEXT) | instid1(VALU_DEP_1)
	v_mul_u32_u24_e32 v113, 26, v113
	v_or_b32_e32 v113, v113, v108
	s_delay_alu instid0(VALU_DEP_4)
	v_fma_f64 v[18:19], v[14:15], v[8:9], -v[12:13]
	v_mul_f64_e32 v[12:13], v[14:15], v[10:11]
	ds_load_b64 v[14:15], v175 offset:10400
	ds_load_b64 v[106:107], v180
	s_wait_dscnt 0x1
	v_mul_f64_e32 v[109:110], v[14:15], v[10:11]
	v_mul_f64_e32 v[10:11], v[76:77], v[10:11]
	v_fma_f64 v[12:13], v[111:112], v[8:9], v[12:13]
	s_delay_alu instid0(VALU_DEP_3) | instskip(NEXT) | instid1(VALU_DEP_3)
	v_fma_f64 v[116:117], v[76:77], v[8:9], -v[109:110]
	v_fma_f64 v[76:77], v[14:15], v[8:9], v[10:11]
	v_mul_f64_e32 v[8:9], v[104:105], v[6:7]
	s_delay_alu instid0(VALU_DEP_1) | instskip(SKIP_1) | instid1(VALU_DEP_2)
	v_fma_f64 v[14:15], v[34:35], v[4:5], -v[8:9]
	v_mul_f64_e32 v[8:9], v[34:35], v[6:7]
	v_add_f64_e32 v[111:112], v[14:15], v[18:19]
	s_delay_alu instid0(VALU_DEP_2)
	v_fma_f64 v[34:35], v[104:105], v[4:5], v[8:9]
	ds_load_2addr_b64 v[8:11], v175 offset1:156
	global_wb scope:SCOPE_SE
	s_wait_dscnt 0x0
	s_barrier_signal -1
	s_barrier_wait -1
	global_inv scope:SCOPE_SE
	v_mul_f64_e32 v[104:105], v[10:11], v[6:7]
	s_delay_alu instid0(VALU_DEP_1) | instskip(SKIP_1) | instid1(VALU_DEP_1)
	v_fma_f64 v[118:119], v[2:3], v[4:5], -v[104:105]
	v_mul_f64_e32 v[2:3], v[2:3], v[6:7]
	v_fma_f64 v[114:115], v[10:11], v[4:5], v[2:3]
	v_add_f64_e64 v[2:3], v[34:35], -v[12:13]
	s_delay_alu instid0(VALU_DEP_1)
	v_mul_f64_e32 v[4:5], s[42:43], v[2:3]
	v_mul_f64_e32 v[6:7], s[26:27], v[2:3]
	;; [unrolled: 1-line block ×6, first 2 shown]
	v_fma_f64 v[120:121], v[111:112], s[12:13], -v[4:5]
	v_fma_f64 v[4:5], v[111:112], s[12:13], v[4:5]
	v_fma_f64 v[122:123], v[111:112], s[6:7], -v[6:7]
	v_fma_f64 v[6:7], v[111:112], s[6:7], v[6:7]
	;; [unrolled: 2-line block ×6, first 2 shown]
	v_add_f64_e32 v[111:112], v[0:1], v[120:121]
	v_add_f64_e32 v[4:5], v[0:1], v[4:5]
	;; [unrolled: 1-line block ×13, first 2 shown]
	v_add_f64_e64 v[14:15], v[14:15], -v[18:19]
	v_add_f64_e32 v[130:131], v[34:35], v[12:13]
	v_add_f64_e32 v[34:35], v[8:9], v[34:35]
	s_delay_alu instid0(VALU_DEP_4) | instskip(NEXT) | instid1(VALU_DEP_4)
	v_add_f64_e32 v[0:1], v[0:1], v[80:81]
	v_mul_f64_e32 v[120:121], s[42:43], v[14:15]
	v_mul_f64_e32 v[122:123], s[26:27], v[14:15]
	;; [unrolled: 1-line block ×6, first 2 shown]
	v_add_f64_e32 v[0:1], v[0:1], v[82:83]
	v_fma_f64 v[132:133], v[130:131], s[12:13], v[120:121]
	v_fma_f64 v[120:121], v[130:131], s[12:13], -v[120:121]
	v_fma_f64 v[134:135], v[130:131], s[6:7], v[122:123]
	v_fma_f64 v[122:123], v[130:131], s[6:7], -v[122:123]
	;; [unrolled: 2-line block ×6, first 2 shown]
	v_add_f64_e64 v[82:83], v[82:83], -v[26:27]
	v_add_f64_e32 v[0:1], v[0:1], v[90:91]
	v_add_f64_e32 v[181:182], v[8:9], v[132:133]
	;; [unrolled: 1-line block ×13, first 2 shown]
	v_add_f64_e64 v[8:9], v[28:29], -v[16:17]
	v_add_f64_e32 v[14:15], v[80:81], v[22:23]
	v_add_f64_e64 v[80:81], v[80:81], -v[22:23]
	v_add_f64_e64 v[90:91], v[90:91], -v[102:103]
	v_add_f64_e32 v[0:1], v[0:1], v[94:95]
	v_add_f64_e64 v[94:95], v[94:95], -v[100:101]
	v_mul_f64_e32 v[167:168], s[18:19], v[8:9]
	s_delay_alu instid0(VALU_DEP_3) | instskip(SKIP_1) | instid1(VALU_DEP_3)
	v_add_f64_e32 v[0:1], v[0:1], v[96:97]
	v_add_f64_e64 v[96:97], v[96:97], -v[98:99]
	v_fma_f64 v[172:173], v[14:15], s[14:15], -v[167:168]
	s_delay_alu instid0(VALU_DEP_3) | instskip(NEXT) | instid1(VALU_DEP_2)
	v_add_f64_e32 v[0:1], v[0:1], v[98:99]
	v_add_f64_e32 v[157:158], v[172:173], v[157:158]
	v_mul_f64_e32 v[172:173], s[24:25], v[8:9]
	s_delay_alu instid0(VALU_DEP_3) | instskip(NEXT) | instid1(VALU_DEP_2)
	v_add_f64_e32 v[0:1], v[0:1], v[100:101]
	v_fma_f64 v[177:178], v[14:15], s[20:21], -v[172:173]
	s_delay_alu instid0(VALU_DEP_2) | instskip(NEXT) | instid1(VALU_DEP_2)
	v_add_f64_e32 v[0:1], v[0:1], v[102:103]
	v_add_f64_e32 v[159:160], v[177:178], v[159:160]
	v_add_f64_e64 v[177:178], v[78:79], -v[20:21]
	s_delay_alu instid0(VALU_DEP_3) | instskip(NEXT) | instid1(VALU_DEP_2)
	v_add_f64_e32 v[0:1], v[0:1], v[26:27]
	v_mul_f64_e32 v[185:186], s[24:25], v[177:178]
	s_delay_alu instid0(VALU_DEP_2) | instskip(NEXT) | instid1(VALU_DEP_2)
	v_add_f64_e32 v[0:1], v[0:1], v[22:23]
	v_fma_f64 v[205:206], v[183:184], s[20:21], -v[185:186]
	s_delay_alu instid0(VALU_DEP_2) | instskip(NEXT) | instid1(VALU_DEP_2)
	v_add_f64_e32 v[0:1], v[0:1], v[18:19]
	v_add_f64_e32 v[157:158], v[205:206], v[157:158]
	v_mul_f64_e32 v[205:206], s[44:45], v[177:178]
	s_delay_alu instid0(VALU_DEP_1) | instskip(NEXT) | instid1(VALU_DEP_1)
	v_fma_f64 v[207:208], v[183:184], s[14:15], -v[205:206]
	v_add_f64_e32 v[159:160], v[207:208], v[159:160]
	v_add_f64_e64 v[207:208], v[32:33], -v[24:25]
	s_delay_alu instid0(VALU_DEP_1) | instskip(NEXT) | instid1(VALU_DEP_1)
	v_mul_f64_e32 v[211:212], s[36:37], v[207:208]
	v_fma_f64 v[213:214], v[209:210], s[16:17], -v[211:212]
	s_delay_alu instid0(VALU_DEP_1) | instskip(SKIP_1) | instid1(VALU_DEP_1)
	v_add_f64_e32 v[157:158], v[213:214], v[157:158]
	v_mul_f64_e32 v[213:214], s[30:31], v[207:208]
	v_fma_f64 v[215:216], v[209:210], s[12:13], -v[213:214]
	s_delay_alu instid0(VALU_DEP_1) | instskip(SKIP_1) | instid1(VALU_DEP_1)
	v_add_f64_e32 v[159:160], v[215:216], v[159:160]
	v_add_f64_e64 v[215:216], v[88:89], -v[86:87]
	v_mul_f64_e32 v[219:220], s[34:35], v[215:216]
	s_delay_alu instid0(VALU_DEP_1) | instskip(NEXT) | instid1(VALU_DEP_1)
	v_fma_f64 v[221:222], v[217:218], s[2:3], -v[219:220]
	v_add_f64_e32 v[157:158], v[221:222], v[157:158]
	v_mul_f64_e32 v[221:222], s[26:27], v[215:216]
	s_delay_alu instid0(VALU_DEP_1) | instskip(NEXT) | instid1(VALU_DEP_1)
	v_fma_f64 v[223:224], v[217:218], s[6:7], -v[221:222]
	v_add_f64_e32 v[159:160], v[223:224], v[159:160]
	v_add_f64_e64 v[223:224], v[92:93], -v[84:85]
	s_delay_alu instid0(VALU_DEP_1) | instskip(SKIP_1) | instid1(VALU_DEP_2)
	v_mul_f64_e32 v[227:228], s[30:31], v[223:224]
	v_mul_f64_e32 v[231:232], s[22:23], v[223:224]
	v_fma_f64 v[229:230], v[225:226], s[12:13], -v[227:228]
	s_delay_alu instid0(VALU_DEP_1) | instskip(NEXT) | instid1(VALU_DEP_3)
	v_add_f64_e32 v[229:230], v[229:230], v[157:158]
	v_fma_f64 v[157:158], v[225:226], s[16:17], -v[231:232]
	s_delay_alu instid0(VALU_DEP_1) | instskip(SKIP_3) | instid1(VALU_DEP_1)
	v_add_f64_e32 v[158:159], v[157:158], v[159:160]
	v_lshl_add_u32 v157, v113, 3, 0
	ds_store_2addr_b64 v157, v[229:230], v[158:159] offset0:4 offset1:6
	v_mul_f64_e32 v[158:159], s[36:37], v[8:9]
	v_fma_f64 v[229:230], v[14:15], s[16:17], -v[158:159]
	s_delay_alu instid0(VALU_DEP_1) | instskip(SKIP_1) | instid1(VALU_DEP_1)
	v_add_f64_e32 v[160:161], v[229:230], v[161:162]
	v_mul_f64_e32 v[229:230], s[34:35], v[8:9]
	v_fma_f64 v[233:234], v[14:15], s[2:3], -v[229:230]
	s_delay_alu instid0(VALU_DEP_1) | instskip(SKIP_1) | instid1(VALU_DEP_1)
	v_add_f64_e32 v[162:163], v[233:234], v[163:164]
	;; [unrolled: 4-line block ×9, first 2 shown]
	v_mul_f64_e32 v[247:248], s[18:19], v[223:224]
	v_fma_f64 v[249:250], v[225:226], s[14:15], -v[247:248]
	s_delay_alu instid0(VALU_DEP_1) | instskip(SKIP_2) | instid1(VALU_DEP_1)
	v_add_f64_e32 v[162:163], v[249:250], v[162:163]
	ds_store_2addr_b64 v157, v[160:161], v[162:163] offset0:8 offset1:10
	v_mul_f64_e32 v[160:161], s[30:31], v[8:9]
	v_fma_f64 v[162:163], v[14:15], s[12:13], -v[160:161]
	v_fma_f64 v[160:161], v[14:15], s[12:13], v[160:161]
	s_delay_alu instid0(VALU_DEP_2) | instskip(NEXT) | instid1(VALU_DEP_2)
	v_add_f64_e32 v[162:163], v[162:163], v[165:166]
	v_add_f64_e32 v[2:3], v[160:161], v[2:3]
	v_mul_f64_e32 v[160:161], s[22:23], v[177:178]
	s_delay_alu instid0(VALU_DEP_1) | instskip(SKIP_1) | instid1(VALU_DEP_2)
	v_fma_f64 v[164:165], v[183:184], s[16:17], -v[160:161]
	v_fma_f64 v[160:161], v[183:184], s[16:17], v[160:161]
	v_add_f64_e32 v[162:163], v[164:165], v[162:163]
	s_delay_alu instid0(VALU_DEP_2) | instskip(SKIP_1) | instid1(VALU_DEP_1)
	v_add_f64_e32 v[2:3], v[160:161], v[2:3]
	v_mul_f64_e32 v[160:161], s[38:39], v[207:208]
	v_fma_f64 v[164:165], v[209:210], s[6:7], -v[160:161]
	v_fma_f64 v[160:161], v[209:210], s[6:7], v[160:161]
	s_delay_alu instid0(VALU_DEP_2) | instskip(NEXT) | instid1(VALU_DEP_2)
	v_add_f64_e32 v[162:163], v[164:165], v[162:163]
	v_add_f64_e32 v[2:3], v[160:161], v[2:3]
	v_mul_f64_e32 v[160:161], s[18:19], v[215:216]
	s_delay_alu instid0(VALU_DEP_1) | instskip(SKIP_1) | instid1(VALU_DEP_2)
	v_fma_f64 v[164:165], v[217:218], s[14:15], -v[160:161]
	v_fma_f64 v[160:161], v[217:218], s[14:15], v[160:161]
	v_add_f64_e32 v[162:163], v[164:165], v[162:163]
	s_delay_alu instid0(VALU_DEP_2) | instskip(SKIP_1) | instid1(VALU_DEP_1)
	v_add_f64_e32 v[2:3], v[160:161], v[2:3]
	v_mul_f64_e32 v[160:161], s[34:35], v[223:224]
	v_fma_f64 v[164:165], v[225:226], s[2:3], -v[160:161]
	v_fma_f64 v[160:161], v[225:226], s[2:3], v[160:161]
	s_delay_alu instid0(VALU_DEP_2) | instskip(NEXT) | instid1(VALU_DEP_2)
	v_add_f64_e32 v[162:163], v[164:165], v[162:163]
	v_add_f64_e32 v[2:3], v[160:161], v[2:3]
	ds_store_2addr_b64 v157, v[162:163], v[2:3] offset0:12 offset1:14
	v_fma_f64 v[2:3], v[14:15], s[16:17], v[158:159]
	s_delay_alu instid0(VALU_DEP_1) | instskip(SKIP_1) | instid1(VALU_DEP_1)
	v_add_f64_e32 v[2:3], v[2:3], v[104:105]
	v_fma_f64 v[104:105], v[14:15], s[2:3], v[229:230]
	v_add_f64_e32 v[104:105], v[104:105], v[109:110]
	v_fma_f64 v[109:110], v[183:184], s[12:13], v[233:234]
	s_delay_alu instid0(VALU_DEP_1) | instskip(SKIP_1) | instid1(VALU_DEP_1)
	v_add_f64_e32 v[2:3], v[109:110], v[2:3]
	v_fma_f64 v[109:110], v[183:184], s[6:7], v[235:236]
	v_add_f64_e32 v[104:105], v[109:110], v[104:105]
	;; [unrolled: 5-line block ×5, first 2 shown]
	ds_store_2addr_b64 v157, v[104:105], v[2:3] offset0:16 offset1:18
	v_fma_f64 v[2:3], v[14:15], s[14:15], v[167:168]
	s_delay_alu instid0(VALU_DEP_1) | instskip(SKIP_1) | instid1(VALU_DEP_1)
	v_add_f64_e32 v[2:3], v[2:3], v[6:7]
	v_fma_f64 v[6:7], v[14:15], s[20:21], v[172:173]
	v_add_f64_e32 v[6:7], v[6:7], v[10:11]
	v_fma_f64 v[10:11], v[183:184], s[20:21], v[185:186]
	s_delay_alu instid0(VALU_DEP_1) | instskip(SKIP_1) | instid1(VALU_DEP_1)
	v_add_f64_e32 v[2:3], v[10:11], v[2:3]
	v_fma_f64 v[10:11], v[183:184], s[14:15], v[205:206]
	v_add_f64_e32 v[6:7], v[10:11], v[6:7]
	;; [unrolled: 5-line block ×5, first 2 shown]
	ds_store_2addr_b64 v157, v[6:7], v[2:3] offset0:20 offset1:22
	v_mul_f64_e32 v[2:3], s[26:27], v[8:9]
	v_mul_f64_e32 v[8:9], s[28:29], v[177:178]
	s_delay_alu instid0(VALU_DEP_2) | instskip(NEXT) | instid1(VALU_DEP_2)
	v_fma_f64 v[6:7], v[14:15], s[6:7], -v[2:3]
	v_fma_f64 v[10:11], v[183:184], s[2:3], -v[8:9]
	s_delay_alu instid0(VALU_DEP_2) | instskip(NEXT) | instid1(VALU_DEP_1)
	v_add_f64_e32 v[6:7], v[6:7], v[111:112]
	v_add_f64_e32 v[6:7], v[10:11], v[6:7]
	v_mul_f64_e32 v[10:11], s[18:19], v[207:208]
	s_delay_alu instid0(VALU_DEP_1) | instskip(NEXT) | instid1(VALU_DEP_1)
	v_fma_f64 v[104:105], v[209:210], s[14:15], -v[10:11]
	v_add_f64_e32 v[6:7], v[104:105], v[6:7]
	v_mul_f64_e32 v[104:105], s[22:23], v[215:216]
	s_delay_alu instid0(VALU_DEP_1) | instskip(NEXT) | instid1(VALU_DEP_1)
	v_fma_f64 v[109:110], v[217:218], s[16:17], -v[104:105]
	v_add_f64_e32 v[6:7], v[109:110], v[6:7]
	v_mul_f64_e32 v[109:110], s[24:25], v[223:224]
	s_delay_alu instid0(VALU_DEP_1) | instskip(NEXT) | instid1(VALU_DEP_1)
	v_fma_f64 v[111:112], v[225:226], s[20:21], -v[109:110]
	v_add_f64_e32 v[6:7], v[111:112], v[6:7]
	v_add_f64_e32 v[111:112], v[36:37], v[72:73]
	ds_store_2addr_b64 v157, v[0:1], v[6:7] offset1:2
	v_fma_f64 v[0:1], v[14:15], s[6:7], v[2:3]
	v_fma_f64 v[2:3], v[183:184], s[2:3], v[8:9]
	;; [unrolled: 1-line block ×5, first 2 shown]
	v_add_f64_e32 v[14:15], v[118:119], v[116:117]
	v_add_f64_e64 v[109:110], v[40:41], -v[74:75]
	v_add_f64_e32 v[0:1], v[0:1], v[4:5]
	v_add_f64_e64 v[4:5], v[114:115], -v[76:77]
	s_delay_alu instid0(VALU_DEP_3)
	v_mul_f64_e32 v[159:160], s[26:27], v[109:110]
	v_mul_f64_e32 v[211:212], s[24:25], v[109:110]
	;; [unrolled: 1-line block ×3, first 2 shown]
	v_add_f64_e32 v[0:1], v[2:3], v[0:1]
	v_mul_f64_e32 v[18:19], s[42:43], v[4:5]
	v_add_f64_e64 v[2:3], v[38:39], -v[68:69]
	v_fma_f64 v[161:162], v[111:112], s[6:7], -v[159:160]
	v_fma_f64 v[213:214], v[111:112], s[20:21], -v[211:212]
	v_fma_f64 v[237:238], v[111:112], s[2:3], -v[235:236]
	v_add_f64_e32 v[0:1], v[6:7], v[0:1]
	v_fma_f64 v[104:105], v[14:15], s[12:13], -v[18:19]
	v_mul_f64_e32 v[163:164], s[28:29], v[2:3]
	v_add_f64_e64 v[6:7], v[48:49], -v[64:65]
	s_delay_alu instid0(VALU_DEP_4) | instskip(NEXT) | instid1(VALU_DEP_4)
	v_add_f64_e32 v[0:1], v[8:9], v[0:1]
	v_add_f64_e32 v[104:105], v[30:31], v[104:105]
	v_add_f64_e64 v[8:9], v[50:51], -v[44:45]
	s_delay_alu instid0(VALU_DEP_4) | instskip(NEXT) | instid1(VALU_DEP_4)
	v_mul_f64_e32 v[167:168], s[18:19], v[6:7]
	v_add_f64_e32 v[0:1], v[10:11], v[0:1]
	s_delay_alu instid0(VALU_DEP_4)
	v_add_f64_e32 v[104:105], v[161:162], v[104:105]
	v_add_f64_e32 v[161:162], v[46:47], v[70:71]
	v_mul_f64_e32 v[177:178], s[22:23], v[8:9]
	v_add_f64_e64 v[10:11], v[56:57], -v[42:43]
	ds_store_b64 v157, v[0:1] offset:192
	v_lshrrev_b32_e32 v0, 1, v143
	v_fma_f64 v[165:166], v[161:162], s[2:3], -v[163:164]
	v_mul_f64_e32 v[185:186], s[24:25], v[10:11]
	s_delay_alu instid0(VALU_DEP_3) | instskip(NEXT) | instid1(VALU_DEP_1)
	v_mul_lo_u32 v0, v0, 26
	v_or_b32_e32 v108, v0, v108
	v_add_f64_e32 v[0:1], v[30:31], v[118:119]
	s_delay_alu instid0(VALU_DEP_2) | instskip(SKIP_2) | instid1(VALU_DEP_4)
	v_lshl_add_u32 v158, v108, 3, 0
	v_add_f64_e32 v[104:105], v[165:166], v[104:105]
	v_add_f64_e32 v[165:166], v[52:53], v[66:67]
	;; [unrolled: 1-line block ×3, first 2 shown]
	v_add_f64_e64 v[36:37], v[36:37], -v[72:73]
	s_delay_alu instid0(VALU_DEP_3) | instskip(NEXT) | instid1(VALU_DEP_3)
	v_fma_f64 v[172:173], v[165:166], s[14:15], -v[167:168]
	v_add_f64_e32 v[0:1], v[0:1], v[46:47]
	v_add_f64_e64 v[46:47], v[46:47], -v[70:71]
	s_delay_alu instid0(VALU_DEP_3) | instskip(SKIP_1) | instid1(VALU_DEP_4)
	v_add_f64_e32 v[104:105], v[172:173], v[104:105]
	v_add_f64_e32 v[172:173], v[54:55], v[62:63]
	;; [unrolled: 1-line block ×3, first 2 shown]
	v_add_f64_e64 v[52:53], v[52:53], -v[66:67]
	s_delay_alu instid0(VALU_DEP_3) | instskip(NEXT) | instid1(VALU_DEP_3)
	v_fma_f64 v[183:184], v[172:173], s[16:17], -v[177:178]
	v_add_f64_e32 v[0:1], v[0:1], v[54:55]
	v_add_f64_e64 v[54:55], v[54:55], -v[62:63]
	s_delay_alu instid0(VALU_DEP_3) | instskip(SKIP_1) | instid1(VALU_DEP_4)
	v_add_f64_e32 v[104:105], v[183:184], v[104:105]
	v_add_f64_e32 v[183:184], v[58:59], v[60:61]
	;; [unrolled: 1-line block ×3, first 2 shown]
	s_delay_alu instid0(VALU_DEP_2) | instskip(NEXT) | instid1(VALU_DEP_2)
	v_fma_f64 v[205:206], v[183:184], s[20:21], -v[185:186]
	v_add_f64_e32 v[0:1], v[0:1], v[60:61]
	s_delay_alu instid0(VALU_DEP_2) | instskip(SKIP_1) | instid1(VALU_DEP_3)
	v_add_f64_e32 v[104:105], v[205:206], v[104:105]
	v_mul_f64_e32 v[205:206], s[18:19], v[109:110]
	v_add_f64_e32 v[0:1], v[0:1], v[62:63]
	v_mul_f64_e32 v[62:63], s[18:19], v[52:53]
	s_delay_alu instid0(VALU_DEP_3) | instskip(NEXT) | instid1(VALU_DEP_3)
	v_fma_f64 v[207:208], v[111:112], s[14:15], -v[205:206]
	v_add_f64_e32 v[0:1], v[0:1], v[66:67]
	v_mul_f64_e32 v[66:67], s[28:29], v[46:47]
	s_delay_alu instid0(VALU_DEP_2) | instskip(NEXT) | instid1(VALU_DEP_1)
	v_add_f64_e32 v[0:1], v[0:1], v[70:71]
	v_add_f64_e32 v[0:1], v[0:1], v[72:73]
	s_delay_alu instid0(VALU_DEP_1) | instskip(SKIP_2) | instid1(VALU_DEP_1)
	v_add_f64_e32 v[0:1], v[0:1], v[116:117]
	ds_store_2addr_b64 v158, v[0:1], v[104:105] offset1:2
	v_mul_f64_e32 v[0:1], s[26:27], v[4:5]
	v_fma_f64 v[104:105], v[14:15], s[6:7], -v[0:1]
	v_fma_f64 v[0:1], v[14:15], s[6:7], v[0:1]
	s_delay_alu instid0(VALU_DEP_2) | instskip(NEXT) | instid1(VALU_DEP_2)
	v_add_f64_e32 v[104:105], v[30:31], v[104:105]
	v_add_f64_e32 v[0:1], v[30:31], v[0:1]
	s_delay_alu instid0(VALU_DEP_2) | instskip(SKIP_1) | instid1(VALU_DEP_1)
	v_add_f64_e32 v[104:105], v[207:208], v[104:105]
	v_mul_f64_e32 v[207:208], s[28:29], v[4:5]
	v_fma_f64 v[209:210], v[14:15], s[2:3], -v[207:208]
	s_delay_alu instid0(VALU_DEP_1) | instskip(NEXT) | instid1(VALU_DEP_1)
	v_add_f64_e32 v[209:210], v[30:31], v[209:210]
	v_add_f64_e32 v[209:210], v[213:214], v[209:210]
	v_mul_f64_e32 v[213:214], s[24:25], v[2:3]
	s_delay_alu instid0(VALU_DEP_1) | instskip(NEXT) | instid1(VALU_DEP_1)
	v_fma_f64 v[215:216], v[161:162], s[20:21], -v[213:214]
	v_add_f64_e32 v[104:105], v[215:216], v[104:105]
	v_mul_f64_e32 v[215:216], s[44:45], v[2:3]
	s_delay_alu instid0(VALU_DEP_1) | instskip(NEXT) | instid1(VALU_DEP_1)
	v_fma_f64 v[217:218], v[161:162], s[14:15], -v[215:216]
	;; [unrolled: 4-line block ×8, first 2 shown]
	v_add_f64_e32 v[209:210], v[229:230], v[209:210]
	v_mul_f64_e32 v[229:230], s[36:37], v[109:110]
	v_mul_f64_e32 v[108:109], s[30:31], v[109:110]
	ds_store_2addr_b64 v158, v[104:105], v[209:210] offset0:4 offset1:6
	v_mul_f64_e32 v[104:105], s[18:19], v[4:5]
	v_fma_f64 v[231:232], v[111:112], s[16:17], -v[229:230]
	s_delay_alu instid0(VALU_DEP_2) | instskip(NEXT) | instid1(VALU_DEP_1)
	v_fma_f64 v[209:210], v[14:15], s[14:15], -v[104:105]
	v_add_f64_e32 v[209:210], v[30:31], v[209:210]
	s_delay_alu instid0(VALU_DEP_1) | instskip(SKIP_2) | instid1(VALU_DEP_2)
	v_add_f64_e32 v[209:210], v[231:232], v[209:210]
	v_mul_f64_e32 v[231:232], s[22:23], v[4:5]
	v_mul_f64_e32 v[4:5], s[24:25], v[4:5]
	v_fma_f64 v[233:234], v[14:15], s[16:17], -v[231:232]
	s_delay_alu instid0(VALU_DEP_1) | instskip(NEXT) | instid1(VALU_DEP_1)
	v_add_f64_e32 v[233:234], v[30:31], v[233:234]
	v_add_f64_e32 v[233:234], v[237:238], v[233:234]
	v_mul_f64_e32 v[237:238], s[30:31], v[2:3]
	s_delay_alu instid0(VALU_DEP_1) | instskip(NEXT) | instid1(VALU_DEP_1)
	v_fma_f64 v[239:240], v[161:162], s[12:13], -v[237:238]
	v_add_f64_e32 v[209:210], v[239:240], v[209:210]
	v_mul_f64_e32 v[239:240], s[26:27], v[2:3]
	v_mul_f64_e32 v[2:3], s[22:23], v[2:3]
	s_delay_alu instid0(VALU_DEP_2) | instskip(NEXT) | instid1(VALU_DEP_1)
	v_fma_f64 v[241:242], v[161:162], s[6:7], -v[239:240]
	v_add_f64_e32 v[233:234], v[241:242], v[233:234]
	v_mul_f64_e32 v[241:242], s[28:29], v[6:7]
	s_delay_alu instid0(VALU_DEP_1) | instskip(NEXT) | instid1(VALU_DEP_1)
	v_fma_f64 v[243:244], v[165:166], s[2:3], -v[241:242]
	v_add_f64_e32 v[209:210], v[243:244], v[209:210]
	v_mul_f64_e32 v[243:244], s[40:41], v[6:7]
	s_delay_alu instid0(VALU_DEP_1) | instskip(NEXT) | instid1(VALU_DEP_1)
	;; [unrolled: 4-line block ×6, first 2 shown]
	v_fma_f64 v[253:254], v[183:184], s[14:15], -v[251:252]
	v_add_f64_e32 v[233:234], v[253:254], v[233:234]
	ds_store_2addr_b64 v158, v[209:210], v[233:234] offset0:8 offset1:10
	v_fma_f64 v[209:210], v[14:15], s[20:21], -v[4:5]
	v_fma_f64 v[4:5], v[14:15], s[20:21], v[4:5]
	v_fma_f64 v[233:234], v[111:112], s[12:13], -v[108:109]
	v_fma_f64 v[108:109], v[111:112], s[12:13], v[108:109]
	s_delay_alu instid0(VALU_DEP_4) | instskip(NEXT) | instid1(VALU_DEP_4)
	v_add_f64_e32 v[209:210], v[30:31], v[209:210]
	v_add_f64_e32 v[4:5], v[30:31], v[4:5]
	s_delay_alu instid0(VALU_DEP_2) | instskip(NEXT) | instid1(VALU_DEP_2)
	v_add_f64_e32 v[209:210], v[233:234], v[209:210]
	v_add_f64_e32 v[4:5], v[108:109], v[4:5]
	v_fma_f64 v[108:109], v[161:162], s[16:17], -v[2:3]
	v_fma_f64 v[2:3], v[161:162], s[16:17], v[2:3]
	s_delay_alu instid0(VALU_DEP_2) | instskip(NEXT) | instid1(VALU_DEP_2)
	v_add_f64_e32 v[108:109], v[108:109], v[209:210]
	v_add_f64_e32 v[2:3], v[2:3], v[4:5]
	v_mul_f64_e32 v[4:5], s[38:39], v[6:7]
	s_delay_alu instid0(VALU_DEP_1) | instskip(SKIP_1) | instid1(VALU_DEP_2)
	v_fma_f64 v[6:7], v[165:166], s[6:7], -v[4:5]
	v_fma_f64 v[4:5], v[165:166], s[6:7], v[4:5]
	v_add_f64_e32 v[6:7], v[6:7], v[108:109]
	s_delay_alu instid0(VALU_DEP_2) | instskip(SKIP_1) | instid1(VALU_DEP_1)
	v_add_f64_e32 v[2:3], v[4:5], v[2:3]
	v_mul_f64_e32 v[4:5], s[18:19], v[8:9]
	v_fma_f64 v[8:9], v[172:173], s[14:15], -v[4:5]
	v_fma_f64 v[4:5], v[172:173], s[14:15], v[4:5]
	s_delay_alu instid0(VALU_DEP_2) | instskip(NEXT) | instid1(VALU_DEP_2)
	v_add_f64_e32 v[6:7], v[8:9], v[6:7]
	v_add_f64_e32 v[2:3], v[4:5], v[2:3]
	v_mul_f64_e32 v[4:5], s[34:35], v[10:11]
	v_fma_f64 v[10:11], v[183:184], s[20:21], v[185:186]
	s_delay_alu instid0(VALU_DEP_2) | instskip(SKIP_1) | instid1(VALU_DEP_2)
	v_fma_f64 v[8:9], v[183:184], s[2:3], -v[4:5]
	v_fma_f64 v[4:5], v[183:184], s[2:3], v[4:5]
	v_add_f64_e32 v[6:7], v[8:9], v[6:7]
	s_delay_alu instid0(VALU_DEP_2)
	v_add_f64_e32 v[2:3], v[4:5], v[2:3]
	v_fma_f64 v[4:5], v[111:112], s[16:17], v[229:230]
	v_fma_f64 v[8:9], v[172:173], s[16:17], v[177:178]
	ds_store_2addr_b64 v158, v[6:7], v[2:3] offset0:12 offset1:14
	v_fma_f64 v[2:3], v[14:15], s[14:15], v[104:105]
	v_fma_f64 v[6:7], v[111:112], s[2:3], v[235:236]
	s_delay_alu instid0(VALU_DEP_2) | instskip(NEXT) | instid1(VALU_DEP_1)
	v_add_f64_e32 v[2:3], v[30:31], v[2:3]
	v_add_f64_e32 v[2:3], v[4:5], v[2:3]
	v_fma_f64 v[4:5], v[14:15], s[16:17], v[231:232]
	s_delay_alu instid0(VALU_DEP_1) | instskip(NEXT) | instid1(VALU_DEP_1)
	v_add_f64_e32 v[4:5], v[30:31], v[4:5]
	v_add_f64_e32 v[4:5], v[6:7], v[4:5]
	v_fma_f64 v[6:7], v[161:162], s[12:13], v[237:238]
	s_delay_alu instid0(VALU_DEP_1) | instskip(SKIP_1) | instid1(VALU_DEP_1)
	v_add_f64_e32 v[2:3], v[6:7], v[2:3]
	v_fma_f64 v[6:7], v[161:162], s[6:7], v[239:240]
	v_add_f64_e32 v[4:5], v[6:7], v[4:5]
	v_fma_f64 v[6:7], v[165:166], s[2:3], v[241:242]
	s_delay_alu instid0(VALU_DEP_1) | instskip(SKIP_1) | instid1(VALU_DEP_1)
	v_add_f64_e32 v[2:3], v[6:7], v[2:3]
	v_fma_f64 v[6:7], v[165:166], s[20:21], v[243:244]
	;; [unrolled: 5-line block ×4, first 2 shown]
	v_add_f64_e32 v[4:5], v[6:7], v[4:5]
	v_fma_f64 v[6:7], v[165:166], s[14:15], v[167:168]
	v_mul_f64_e32 v[167:168], s[22:23], v[94:95]
	ds_store_2addr_b64 v158, v[4:5], v[2:3] offset0:16 offset1:18
	v_fma_f64 v[2:3], v[111:112], s[14:15], v[205:206]
	v_fma_f64 v[4:5], v[111:112], s[20:21], v[211:212]
	s_delay_alu instid0(VALU_DEP_2) | instskip(SKIP_1) | instid1(VALU_DEP_1)
	v_add_f64_e32 v[0:1], v[2:3], v[0:1]
	v_fma_f64 v[2:3], v[14:15], s[2:3], v[207:208]
	v_add_f64_e32 v[2:3], v[30:31], v[2:3]
	s_delay_alu instid0(VALU_DEP_1) | instskip(SKIP_1) | instid1(VALU_DEP_1)
	v_add_f64_e32 v[2:3], v[4:5], v[2:3]
	v_fma_f64 v[4:5], v[161:162], s[20:21], v[213:214]
	v_add_f64_e32 v[0:1], v[4:5], v[0:1]
	v_fma_f64 v[4:5], v[161:162], s[14:15], v[215:216]
	s_delay_alu instid0(VALU_DEP_1) | instskip(SKIP_1) | instid1(VALU_DEP_1)
	v_add_f64_e32 v[2:3], v[4:5], v[2:3]
	v_fma_f64 v[4:5], v[165:166], s[16:17], v[217:218]
	v_add_f64_e32 v[0:1], v[4:5], v[0:1]
	v_fma_f64 v[4:5], v[165:166], s[12:13], v[219:220]
	v_mul_f64_e32 v[165:166], s[18:19], v[90:91]
	s_delay_alu instid0(VALU_DEP_2) | instskip(SKIP_1) | instid1(VALU_DEP_1)
	v_add_f64_e32 v[2:3], v[4:5], v[2:3]
	v_fma_f64 v[4:5], v[172:173], s[2:3], v[221:222]
	v_add_f64_e32 v[0:1], v[4:5], v[0:1]
	v_fma_f64 v[4:5], v[172:173], s[6:7], v[223:224]
	v_mul_f64_e32 v[172:173], s[24:25], v[96:97]
	s_delay_alu instid0(VALU_DEP_2) | instskip(SKIP_1) | instid1(VALU_DEP_1)
	v_add_f64_e32 v[2:3], v[4:5], v[2:3]
	v_fma_f64 v[4:5], v[183:184], s[12:13], v[225:226]
	v_add_f64_e32 v[0:1], v[4:5], v[0:1]
	v_fma_f64 v[4:5], v[183:184], s[16:17], v[227:228]
	s_delay_alu instid0(VALU_DEP_1)
	v_add_f64_e32 v[2:3], v[4:5], v[2:3]
	v_fma_f64 v[4:5], v[161:162], s[2:3], v[163:164]
	v_mul_f64_e32 v[161:162], s[26:27], v[80:81]
	v_add_f64_e32 v[163:164], v[32:33], v[24:25]
	ds_store_2addr_b64 v158, v[2:3], v[0:1] offset0:20 offset1:22
	v_fma_f64 v[0:1], v[14:15], s[12:13], v[18:19]
	v_fma_f64 v[2:3], v[111:112], s[6:7], v[159:160]
	v_add_f64_e32 v[159:160], v[92:93], v[84:85]
	s_delay_alu instid0(VALU_DEP_3) | instskip(NEXT) | instid1(VALU_DEP_1)
	v_add_f64_e32 v[0:1], v[30:31], v[0:1]
	v_add_f64_e32 v[0:1], v[2:3], v[0:1]
	;; [unrolled: 1-line block ×3, first 2 shown]
	s_delay_alu instid0(VALU_DEP_2) | instskip(NEXT) | instid1(VALU_DEP_2)
	v_add_f64_e32 v[0:1], v[4:5], v[0:1]
	v_add_f64_e32 v[2:3], v[2:3], v[78:79]
	;; [unrolled: 1-line block ×3, first 2 shown]
	s_delay_alu instid0(VALU_DEP_3) | instskip(NEXT) | instid1(VALU_DEP_3)
	v_add_f64_e32 v[0:1], v[6:7], v[0:1]
	v_add_f64_e32 v[2:3], v[2:3], v[32:33]
	v_fma_f64 v[6:7], v[163:164], s[14:15], v[165:166]
	s_delay_alu instid0(VALU_DEP_3) | instskip(NEXT) | instid1(VALU_DEP_3)
	v_add_f64_e32 v[0:1], v[8:9], v[0:1]
	v_add_f64_e32 v[2:3], v[2:3], v[88:89]
	;; [unrolled: 1-line block ×3, first 2 shown]
	s_delay_alu instid0(VALU_DEP_3) | instskip(NEXT) | instid1(VALU_DEP_3)
	v_add_f64_e32 v[0:1], v[10:11], v[0:1]
	v_add_f64_e32 v[2:3], v[2:3], v[92:93]
	ds_store_b64 v158, v[0:1] offset:192
	v_add_f64_e32 v[2:3], v[2:3], v[84:85]
	v_add_f64_e32 v[84:85], v[28:29], v[16:17]
	global_wb scope:SCOPE_SE
	s_wait_dscnt 0x0
	s_barrier_signal -1
	s_barrier_wait -1
	global_inv scope:SCOPE_SE
	v_add_f64_e32 v[2:3], v[2:3], v[86:87]
	v_fma_f64 v[14:15], v[84:85], s[6:7], v[161:162]
	v_mul_f64_e32 v[86:87], s[28:29], v[82:83]
	s_delay_alu instid0(VALU_DEP_3) | instskip(NEXT) | instid1(VALU_DEP_3)
	v_add_f64_e32 v[2:3], v[2:3], v[24:25]
	v_add_f64_e32 v[14:15], v[14:15], v[181:182]
	s_delay_alu instid0(VALU_DEP_3) | instskip(NEXT) | instid1(VALU_DEP_3)
	v_fma_f64 v[4:5], v[78:79], s[2:3], v[86:87]
	v_add_f64_e32 v[2:3], v[2:3], v[20:21]
	s_delay_alu instid0(VALU_DEP_2) | instskip(NEXT) | instid1(VALU_DEP_2)
	v_add_f64_e32 v[4:5], v[4:5], v[14:15]
	v_add_f64_e32 v[2:3], v[2:3], v[16:17]
	s_delay_alu instid0(VALU_DEP_2) | instskip(SKIP_1) | instid1(VALU_DEP_3)
	v_add_f64_e32 v[4:5], v[6:7], v[4:5]
	v_fma_f64 v[6:7], v[88:89], s[16:17], v[167:168]
	v_add_f64_e32 v[181:182], v[2:3], v[12:13]
	s_delay_alu instid0(VALU_DEP_2) | instskip(SKIP_1) | instid1(VALU_DEP_1)
	v_add_f64_e32 v[4:5], v[6:7], v[4:5]
	v_fma_f64 v[6:7], v[159:160], s[20:21], v[172:173]
	v_add_f64_e32 v[177:178], v[6:7], v[4:5]
	ds_load_b64 v[110:111], v154
	ds_load_b64 v[108:109], v149
	;; [unrolled: 1-line block ×7, first 2 shown]
	ds_load_b64 v[102:103], v175 offset:10400
	ds_load_2addr_b64 v[0:3], v175 offset1:156
	ds_load_2addr_b64 v[24:27], v203 offset0:164 offset1:216
	ds_load_2addr_b64 v[20:23], v201 offset0:12 offset1:64
	;; [unrolled: 1-line block ×8, first 2 shown]
	global_wb scope:SCOPE_SE
	s_wait_dscnt 0x0
	s_barrier_signal -1
	s_barrier_wait -1
	global_inv scope:SCOPE_SE
	ds_store_2addr_b64 v157, v[181:182], v[177:178] offset1:2
	v_mul_f64_e32 v[177:178], s[18:19], v[80:81]
	s_delay_alu instid0(VALU_DEP_1) | instskip(NEXT) | instid1(VALU_DEP_1)
	v_fma_f64 v[181:182], v[84:85], s[14:15], v[177:178]
	v_add_f64_e32 v[140:141], v[181:182], v[140:141]
	v_mul_f64_e32 v[181:182], s[24:25], v[80:81]
	s_delay_alu instid0(VALU_DEP_1) | instskip(NEXT) | instid1(VALU_DEP_1)
	v_fma_f64 v[183:184], v[84:85], s[20:21], v[181:182]
	v_add_f64_e32 v[138:139], v[183:184], v[138:139]
	;; [unrolled: 4-line block ×10, first 2 shown]
	ds_store_2addr_b64 v157, v[140:141], v[138:139] offset0:4 offset1:6
	v_mul_f64_e32 v[138:139], s[36:37], v[80:81]
	s_delay_alu instid0(VALU_DEP_1) | instskip(NEXT) | instid1(VALU_DEP_1)
	v_fma_f64 v[140:141], v[84:85], s[16:17], v[138:139]
	v_add_f64_e32 v[136:137], v[140:141], v[136:137]
	v_mul_f64_e32 v[140:141], s[34:35], v[80:81]
	v_mul_f64_e32 v[80:81], s[30:31], v[80:81]
	s_delay_alu instid0(VALU_DEP_2) | instskip(NEXT) | instid1(VALU_DEP_1)
	v_fma_f64 v[217:218], v[84:85], s[2:3], v[140:141]
	v_add_f64_e32 v[134:135], v[217:218], v[134:135]
	v_mul_f64_e32 v[217:218], s[30:31], v[82:83]
	s_delay_alu instid0(VALU_DEP_1) | instskip(NEXT) | instid1(VALU_DEP_1)
	v_fma_f64 v[219:220], v[78:79], s[12:13], v[217:218]
	v_add_f64_e32 v[136:137], v[219:220], v[136:137]
	v_mul_f64_e32 v[219:220], s[26:27], v[82:83]
	v_mul_f64_e32 v[82:83], s[22:23], v[82:83]
	s_delay_alu instid0(VALU_DEP_2) | instskip(NEXT) | instid1(VALU_DEP_1)
	v_fma_f64 v[221:222], v[78:79], s[6:7], v[219:220]
	v_add_f64_e32 v[134:135], v[221:222], v[134:135]
	v_mul_f64_e32 v[221:222], s[28:29], v[90:91]
	s_delay_alu instid0(VALU_DEP_1) | instskip(NEXT) | instid1(VALU_DEP_1)
	v_fma_f64 v[223:224], v[163:164], s[2:3], v[221:222]
	v_add_f64_e32 v[136:137], v[223:224], v[136:137]
	v_mul_f64_e32 v[223:224], s[40:41], v[90:91]
	s_delay_alu instid0(VALU_DEP_1) | instskip(NEXT) | instid1(VALU_DEP_1)
	v_fma_f64 v[225:226], v[163:164], s[20:21], v[223:224]
	v_add_f64_e32 v[134:135], v[225:226], v[134:135]
	v_mul_f64_e32 v[225:226], s[40:41], v[94:95]
	s_delay_alu instid0(VALU_DEP_1) | instskip(NEXT) | instid1(VALU_DEP_1)
	v_fma_f64 v[227:228], v[88:89], s[20:21], v[225:226]
	v_add_f64_e32 v[136:137], v[227:228], v[136:137]
	v_mul_f64_e32 v[227:228], s[30:31], v[94:95]
	s_delay_alu instid0(VALU_DEP_1) | instskip(NEXT) | instid1(VALU_DEP_1)
	v_fma_f64 v[229:230], v[88:89], s[12:13], v[227:228]
	v_add_f64_e32 v[134:135], v[229:230], v[134:135]
	v_mul_f64_e32 v[229:230], s[38:39], v[96:97]
	s_delay_alu instid0(VALU_DEP_1) | instskip(NEXT) | instid1(VALU_DEP_1)
	v_fma_f64 v[231:232], v[159:160], s[6:7], v[229:230]
	v_add_f64_e32 v[136:137], v[231:232], v[136:137]
	v_mul_f64_e32 v[231:232], s[18:19], v[96:97]
	s_delay_alu instid0(VALU_DEP_1) | instskip(NEXT) | instid1(VALU_DEP_1)
	v_fma_f64 v[233:234], v[159:160], s[14:15], v[231:232]
	v_add_f64_e32 v[134:135], v[233:234], v[134:135]
	ds_store_2addr_b64 v157, v[136:137], v[134:135] offset0:8 offset1:10
	v_fma_f64 v[134:135], v[84:85], s[12:13], v[80:81]
	v_fma_f64 v[80:81], v[84:85], s[12:13], -v[80:81]
	s_delay_alu instid0(VALU_DEP_2) | instskip(NEXT) | instid1(VALU_DEP_2)
	v_add_f64_e32 v[132:133], v[134:135], v[132:133]
	v_add_f64_e32 v[80:81], v[80:81], v[130:131]
	v_fma_f64 v[130:131], v[78:79], s[16:17], v[82:83]
	v_fma_f64 v[82:83], v[78:79], s[16:17], -v[82:83]
	s_delay_alu instid0(VALU_DEP_2) | instskip(NEXT) | instid1(VALU_DEP_2)
	v_add_f64_e32 v[130:131], v[130:131], v[132:133]
	v_add_f64_e32 v[80:81], v[82:83], v[80:81]
	v_mul_f64_e32 v[82:83], s[38:39], v[90:91]
	s_delay_alu instid0(VALU_DEP_1) | instskip(SKIP_1) | instid1(VALU_DEP_2)
	v_fma_f64 v[90:91], v[163:164], s[6:7], v[82:83]
	v_fma_f64 v[82:83], v[163:164], s[6:7], -v[82:83]
	v_add_f64_e32 v[90:91], v[90:91], v[130:131]
	s_delay_alu instid0(VALU_DEP_2) | instskip(SKIP_1) | instid1(VALU_DEP_1)
	v_add_f64_e32 v[80:81], v[82:83], v[80:81]
	v_mul_f64_e32 v[82:83], s[18:19], v[94:95]
	v_fma_f64 v[94:95], v[88:89], s[14:15], v[82:83]
	v_fma_f64 v[82:83], v[88:89], s[14:15], -v[82:83]
	s_delay_alu instid0(VALU_DEP_2) | instskip(NEXT) | instid1(VALU_DEP_2)
	v_add_f64_e32 v[90:91], v[94:95], v[90:91]
	v_add_f64_e32 v[80:81], v[82:83], v[80:81]
	v_mul_f64_e32 v[82:83], s[34:35], v[96:97]
	s_delay_alu instid0(VALU_DEP_1) | instskip(SKIP_1) | instid1(VALU_DEP_2)
	v_fma_f64 v[94:95], v[159:160], s[2:3], v[82:83]
	v_fma_f64 v[82:83], v[159:160], s[2:3], -v[82:83]
	v_add_f64_e32 v[90:91], v[94:95], v[90:91]
	s_delay_alu instid0(VALU_DEP_2)
	v_add_f64_e32 v[80:81], v[82:83], v[80:81]
	v_fma_f64 v[82:83], v[84:85], s[2:3], -v[140:141]
	ds_store_2addr_b64 v157, v[90:91], v[80:81] offset0:12 offset1:14
	v_fma_f64 v[80:81], v[84:85], s[16:17], -v[138:139]
	v_fma_f64 v[90:91], v[78:79], s[12:13], -v[217:218]
	v_add_f64_e32 v[82:83], v[82:83], v[128:129]
	s_delay_alu instid0(VALU_DEP_3) | instskip(NEXT) | instid1(VALU_DEP_1)
	v_add_f64_e32 v[80:81], v[80:81], v[126:127]
	v_add_f64_e32 v[80:81], v[90:91], v[80:81]
	v_fma_f64 v[90:91], v[78:79], s[6:7], -v[219:220]
	s_delay_alu instid0(VALU_DEP_1) | instskip(SKIP_1) | instid1(VALU_DEP_1)
	v_add_f64_e32 v[82:83], v[90:91], v[82:83]
	v_fma_f64 v[90:91], v[163:164], s[2:3], -v[221:222]
	v_add_f64_e32 v[80:81], v[90:91], v[80:81]
	v_fma_f64 v[90:91], v[163:164], s[20:21], -v[223:224]
	s_delay_alu instid0(VALU_DEP_1) | instskip(SKIP_1) | instid1(VALU_DEP_1)
	v_add_f64_e32 v[82:83], v[90:91], v[82:83]
	v_fma_f64 v[90:91], v[88:89], s[20:21], -v[225:226]
	;; [unrolled: 5-line block ×3, first 2 shown]
	v_add_f64_e32 v[80:81], v[90:91], v[80:81]
	v_fma_f64 v[90:91], v[159:160], s[14:15], -v[231:232]
	s_delay_alu instid0(VALU_DEP_1) | instskip(SKIP_4) | instid1(VALU_DEP_2)
	v_add_f64_e32 v[82:83], v[90:91], v[82:83]
	v_fma_f64 v[90:91], v[78:79], s[20:21], -v[183:184]
	ds_store_2addr_b64 v157, v[82:83], v[80:81] offset0:16 offset1:18
	v_fma_f64 v[80:81], v[84:85], s[14:15], -v[177:178]
	v_fma_f64 v[82:83], v[84:85], s[20:21], -v[181:182]
	v_add_f64_e32 v[80:81], v[80:81], v[122:123]
	s_delay_alu instid0(VALU_DEP_2) | instskip(SKIP_1) | instid1(VALU_DEP_3)
	v_add_f64_e32 v[82:83], v[82:83], v[124:125]
	v_mul_f64_e32 v[124:125], s[34:35], v[36:37]
	v_add_f64_e32 v[80:81], v[90:91], v[80:81]
	v_fma_f64 v[90:91], v[78:79], s[14:15], -v[185:186]
	v_fma_f64 v[78:79], v[78:79], s[2:3], -v[86:87]
	s_delay_alu instid0(VALU_DEP_2) | instskip(SKIP_2) | instid1(VALU_DEP_2)
	v_add_f64_e32 v[82:83], v[90:91], v[82:83]
	v_fma_f64 v[90:91], v[163:164], s[16:17], -v[205:206]
	v_subrev_nc_u32_e32 v205, 26, v188
	v_add_f64_e32 v[80:81], v[90:91], v[80:81]
	v_fma_f64 v[90:91], v[163:164], s[12:13], -v[207:208]
	s_delay_alu instid0(VALU_DEP_1) | instskip(SKIP_1) | instid1(VALU_DEP_1)
	v_add_f64_e32 v[82:83], v[90:91], v[82:83]
	v_fma_f64 v[90:91], v[88:89], s[2:3], -v[209:210]
	v_add_f64_e32 v[80:81], v[90:91], v[80:81]
	v_fma_f64 v[90:91], v[88:89], s[6:7], -v[211:212]
	s_delay_alu instid0(VALU_DEP_1) | instskip(SKIP_1) | instid1(VALU_DEP_1)
	v_add_f64_e32 v[82:83], v[90:91], v[82:83]
	v_fma_f64 v[90:91], v[159:160], s[12:13], -v[213:214]
	v_add_f64_e32 v[80:81], v[90:91], v[80:81]
	v_fma_f64 v[90:91], v[159:160], s[16:17], -v[215:216]
	s_delay_alu instid0(VALU_DEP_1) | instskip(SKIP_2) | instid1(VALU_DEP_1)
	v_add_f64_e32 v[82:83], v[90:91], v[82:83]
	ds_store_2addr_b64 v157, v[82:83], v[80:81] offset0:20 offset1:22
	v_fma_f64 v[80:81], v[84:85], s[6:7], -v[161:162]
	v_add_f64_e32 v[80:81], v[80:81], v[120:121]
	s_delay_alu instid0(VALU_DEP_1) | instskip(SKIP_1) | instid1(VALU_DEP_1)
	v_add_f64_e32 v[78:79], v[78:79], v[80:81]
	v_fma_f64 v[80:81], v[163:164], s[14:15], -v[165:166]
	v_add_f64_e32 v[78:79], v[80:81], v[78:79]
	v_fma_f64 v[80:81], v[88:89], s[16:17], -v[167:168]
	s_delay_alu instid0(VALU_DEP_1) | instskip(SKIP_1) | instid1(VALU_DEP_1)
	v_add_f64_e32 v[78:79], v[80:81], v[78:79]
	v_fma_f64 v[80:81], v[159:160], s[20:21], -v[172:173]
	v_add_f64_e32 v[78:79], v[80:81], v[78:79]
	v_add_f64_e32 v[80:81], v[106:107], v[114:115]
	ds_store_b64 v157, v[78:79] offset:192
	v_add_f64_e32 v[80:81], v[80:81], v[40:41]
	v_add_f64_e64 v[78:79], v[118:119], -v[116:117]
	v_add_f64_e32 v[40:41], v[40:41], v[74:75]
	s_delay_alu instid0(VALU_DEP_3) | instskip(NEXT) | instid1(VALU_DEP_3)
	v_add_f64_e32 v[80:81], v[80:81], v[38:39]
	v_mul_f64_e32 v[70:71], s[42:43], v[78:79]
	v_add_f64_e32 v[38:39], v[38:39], v[68:69]
	s_delay_alu instid0(VALU_DEP_4) | instskip(NEXT) | instid1(VALU_DEP_4)
	v_fma_f64 v[126:127], v[40:41], s[2:3], v[124:125]
	v_add_f64_e32 v[80:81], v[80:81], v[48:49]
	v_add_f64_e32 v[48:49], v[48:49], v[64:65]
	s_delay_alu instid0(VALU_DEP_2) | instskip(NEXT) | instid1(VALU_DEP_1)
	v_add_f64_e32 v[80:81], v[80:81], v[50:51]
	v_add_f64_e32 v[80:81], v[80:81], v[56:57]
	s_delay_alu instid0(VALU_DEP_1) | instskip(SKIP_1) | instid1(VALU_DEP_2)
	v_add_f64_e32 v[80:81], v[80:81], v[42:43]
	v_add_f64_e32 v[42:43], v[56:57], v[42:43]
	;; [unrolled: 1-line block ×4, first 2 shown]
	v_add_f64_e64 v[50:51], v[58:59], -v[60:61]
	v_mul_f64_e32 v[58:59], s[22:23], v[54:55]
	s_delay_alu instid0(VALU_DEP_4) | instskip(SKIP_1) | instid1(VALU_DEP_4)
	v_add_f64_e32 v[80:81], v[80:81], v[64:65]
	v_fma_f64 v[64:65], v[48:49], s[14:15], v[62:63]
	v_mul_f64_e32 v[56:57], s[24:25], v[50:51]
	s_delay_alu instid0(VALU_DEP_4) | instskip(NEXT) | instid1(VALU_DEP_4)
	v_fma_f64 v[60:61], v[44:45], s[16:17], v[58:59]
	v_add_f64_e32 v[80:81], v[80:81], v[68:69]
	v_fma_f64 v[68:69], v[38:39], s[2:3], v[66:67]
	s_delay_alu instid0(VALU_DEP_2) | instskip(SKIP_1) | instid1(VALU_DEP_2)
	v_add_f64_e32 v[80:81], v[80:81], v[74:75]
	v_mul_f64_e32 v[74:75], s[26:27], v[36:37]
	v_add_f64_e32 v[80:81], v[80:81], v[76:77]
	v_add_f64_e32 v[76:77], v[114:115], v[76:77]
	s_delay_alu instid0(VALU_DEP_3) | instskip(NEXT) | instid1(VALU_DEP_2)
	v_fma_f64 v[82:83], v[40:41], s[6:7], v[74:75]
	v_fma_f64 v[72:73], v[76:77], s[12:13], v[70:71]
	s_delay_alu instid0(VALU_DEP_1) | instskip(NEXT) | instid1(VALU_DEP_1)
	v_add_f64_e32 v[72:73], v[106:107], v[72:73]
	v_add_f64_e32 v[72:73], v[82:83], v[72:73]
	v_mul_f64_e32 v[82:83], s[24:25], v[36:37]
	s_delay_alu instid0(VALU_DEP_2) | instskip(NEXT) | instid1(VALU_DEP_2)
	v_add_f64_e32 v[68:69], v[68:69], v[72:73]
	v_fma_f64 v[84:85], v[40:41], s[20:21], v[82:83]
	s_delay_alu instid0(VALU_DEP_2) | instskip(SKIP_1) | instid1(VALU_DEP_2)
	v_add_f64_e32 v[64:65], v[64:65], v[68:69]
	v_mul_f64_e32 v[68:69], s[18:19], v[36:37]
	v_add_f64_e32 v[60:61], v[60:61], v[64:65]
	v_fma_f64 v[64:65], v[42:43], s[20:21], v[56:57]
	s_delay_alu instid0(VALU_DEP_3) | instskip(NEXT) | instid1(VALU_DEP_2)
	v_fma_f64 v[72:73], v[40:41], s[14:15], v[68:69]
	v_add_f64_e32 v[60:61], v[64:65], v[60:61]
	ds_store_2addr_b64 v158, v[80:81], v[60:61] offset1:2
	v_mul_f64_e32 v[60:61], s[26:27], v[78:79]
	s_delay_alu instid0(VALU_DEP_1) | instskip(NEXT) | instid1(VALU_DEP_1)
	v_fma_f64 v[64:65], v[76:77], s[6:7], v[60:61]
	v_add_f64_e32 v[64:65], v[106:107], v[64:65]
	s_delay_alu instid0(VALU_DEP_1) | instskip(SKIP_1) | instid1(VALU_DEP_1)
	v_add_f64_e32 v[64:65], v[72:73], v[64:65]
	v_mul_f64_e32 v[72:73], s[28:29], v[78:79]
	v_fma_f64 v[80:81], v[76:77], s[2:3], v[72:73]
	s_delay_alu instid0(VALU_DEP_1) | instskip(NEXT) | instid1(VALU_DEP_1)
	v_add_f64_e32 v[80:81], v[106:107], v[80:81]
	v_add_f64_e32 v[80:81], v[84:85], v[80:81]
	v_mul_f64_e32 v[84:85], s[24:25], v[46:47]
	s_delay_alu instid0(VALU_DEP_1) | instskip(NEXT) | instid1(VALU_DEP_1)
	v_fma_f64 v[86:87], v[38:39], s[20:21], v[84:85]
	v_add_f64_e32 v[64:65], v[86:87], v[64:65]
	v_mul_f64_e32 v[86:87], s[44:45], v[46:47]
	s_delay_alu instid0(VALU_DEP_1) | instskip(NEXT) | instid1(VALU_DEP_1)
	v_fma_f64 v[88:89], v[38:39], s[14:15], v[86:87]
	;; [unrolled: 4-line block ×8, first 2 shown]
	v_add_f64_e32 v[80:81], v[118:119], v[80:81]
	v_mul_f64_e32 v[118:119], s[36:37], v[36:37]
	v_mul_f64_e32 v[36:37], s[30:31], v[36:37]
	ds_store_2addr_b64 v158, v[64:65], v[80:81] offset0:4 offset1:6
	v_mul_f64_e32 v[64:65], s[18:19], v[78:79]
	v_fma_f64 v[120:121], v[40:41], s[16:17], v[118:119]
	s_delay_alu instid0(VALU_DEP_2) | instskip(NEXT) | instid1(VALU_DEP_1)
	v_fma_f64 v[80:81], v[76:77], s[14:15], v[64:65]
	v_add_f64_e32 v[80:81], v[106:107], v[80:81]
	s_delay_alu instid0(VALU_DEP_1) | instskip(SKIP_2) | instid1(VALU_DEP_2)
	v_add_f64_e32 v[80:81], v[120:121], v[80:81]
	v_mul_f64_e32 v[120:121], s[22:23], v[78:79]
	v_mul_f64_e32 v[78:79], s[24:25], v[78:79]
	v_fma_f64 v[122:123], v[76:77], s[16:17], v[120:121]
	s_delay_alu instid0(VALU_DEP_1) | instskip(NEXT) | instid1(VALU_DEP_1)
	v_add_f64_e32 v[122:123], v[106:107], v[122:123]
	v_add_f64_e32 v[122:123], v[126:127], v[122:123]
	v_mul_f64_e32 v[126:127], s[30:31], v[46:47]
	s_delay_alu instid0(VALU_DEP_1) | instskip(NEXT) | instid1(VALU_DEP_1)
	v_fma_f64 v[128:129], v[38:39], s[12:13], v[126:127]
	v_add_f64_e32 v[80:81], v[128:129], v[80:81]
	v_mul_f64_e32 v[128:129], s[26:27], v[46:47]
	v_mul_f64_e32 v[46:47], s[22:23], v[46:47]
	s_delay_alu instid0(VALU_DEP_2) | instskip(NEXT) | instid1(VALU_DEP_1)
	v_fma_f64 v[130:131], v[38:39], s[6:7], v[128:129]
	v_add_f64_e32 v[122:123], v[130:131], v[122:123]
	v_mul_f64_e32 v[130:131], s[28:29], v[52:53]
	s_delay_alu instid0(VALU_DEP_1) | instskip(NEXT) | instid1(VALU_DEP_1)
	v_fma_f64 v[132:133], v[48:49], s[2:3], v[130:131]
	v_add_f64_e32 v[80:81], v[132:133], v[80:81]
	v_mul_f64_e32 v[132:133], s[40:41], v[52:53]
	s_delay_alu instid0(VALU_DEP_1) | instskip(NEXT) | instid1(VALU_DEP_1)
	;; [unrolled: 4-line block ×6, first 2 shown]
	v_fma_f64 v[159:160], v[42:43], s[14:15], v[140:141]
	v_add_f64_e32 v[122:123], v[159:160], v[122:123]
	ds_store_2addr_b64 v158, v[80:81], v[122:123] offset0:8 offset1:10
	v_fma_f64 v[80:81], v[76:77], s[20:21], v[78:79]
	v_fma_f64 v[78:79], v[76:77], s[20:21], -v[78:79]
	v_fma_f64 v[122:123], v[40:41], s[12:13], v[36:37]
	v_fma_f64 v[36:37], v[40:41], s[12:13], -v[36:37]
	s_delay_alu instid0(VALU_DEP_4) | instskip(NEXT) | instid1(VALU_DEP_4)
	v_add_f64_e32 v[80:81], v[106:107], v[80:81]
	v_add_f64_e32 v[78:79], v[106:107], v[78:79]
	s_delay_alu instid0(VALU_DEP_2) | instskip(NEXT) | instid1(VALU_DEP_2)
	v_add_f64_e32 v[80:81], v[122:123], v[80:81]
	v_add_f64_e32 v[36:37], v[36:37], v[78:79]
	v_fma_f64 v[78:79], v[38:39], s[16:17], v[46:47]
	v_fma_f64 v[46:47], v[38:39], s[16:17], -v[46:47]
	s_delay_alu instid0(VALU_DEP_2) | instskip(NEXT) | instid1(VALU_DEP_2)
	v_add_f64_e32 v[78:79], v[78:79], v[80:81]
	v_add_f64_e32 v[36:37], v[46:47], v[36:37]
	v_mul_f64_e32 v[46:47], s[38:39], v[52:53]
	s_delay_alu instid0(VALU_DEP_1) | instskip(SKIP_1) | instid1(VALU_DEP_2)
	v_fma_f64 v[52:53], v[48:49], s[6:7], v[46:47]
	v_fma_f64 v[46:47], v[48:49], s[6:7], -v[46:47]
	v_add_f64_e32 v[52:53], v[52:53], v[78:79]
	s_delay_alu instid0(VALU_DEP_2) | instskip(SKIP_1) | instid1(VALU_DEP_1)
	v_add_f64_e32 v[36:37], v[46:47], v[36:37]
	v_mul_f64_e32 v[46:47], s[18:19], v[54:55]
	v_fma_f64 v[54:55], v[44:45], s[14:15], v[46:47]
	v_fma_f64 v[46:47], v[44:45], s[14:15], -v[46:47]
	s_delay_alu instid0(VALU_DEP_2) | instskip(NEXT) | instid1(VALU_DEP_2)
	v_add_f64_e32 v[52:53], v[54:55], v[52:53]
	v_add_f64_e32 v[36:37], v[46:47], v[36:37]
	v_mul_f64_e32 v[46:47], s[34:35], v[50:51]
	s_delay_alu instid0(VALU_DEP_1) | instskip(SKIP_1) | instid1(VALU_DEP_2)
	v_fma_f64 v[50:51], v[42:43], s[2:3], v[46:47]
	v_fma_f64 v[46:47], v[42:43], s[2:3], -v[46:47]
	v_add_f64_e32 v[50:51], v[50:51], v[52:53]
	s_delay_alu instid0(VALU_DEP_2) | instskip(SKIP_4) | instid1(VALU_DEP_2)
	v_add_f64_e32 v[36:37], v[46:47], v[36:37]
	v_fma_f64 v[46:47], v[40:41], s[16:17], -v[118:119]
	ds_store_2addr_b64 v158, v[50:51], v[36:37] offset0:12 offset1:14
	v_fma_f64 v[36:37], v[76:77], s[14:15], -v[64:65]
	v_fma_f64 v[50:51], v[40:41], s[2:3], -v[124:125]
	v_add_f64_e32 v[36:37], v[106:107], v[36:37]
	s_delay_alu instid0(VALU_DEP_1) | instskip(SKIP_1) | instid1(VALU_DEP_1)
	v_add_f64_e32 v[36:37], v[46:47], v[36:37]
	v_fma_f64 v[46:47], v[76:77], s[16:17], -v[120:121]
	v_add_f64_e32 v[46:47], v[106:107], v[46:47]
	s_delay_alu instid0(VALU_DEP_1) | instskip(SKIP_1) | instid1(VALU_DEP_1)
	v_add_f64_e32 v[46:47], v[50:51], v[46:47]
	v_fma_f64 v[50:51], v[38:39], s[12:13], -v[126:127]
	v_add_f64_e32 v[36:37], v[50:51], v[36:37]
	v_fma_f64 v[50:51], v[38:39], s[6:7], -v[128:129]
	s_delay_alu instid0(VALU_DEP_1) | instskip(SKIP_1) | instid1(VALU_DEP_1)
	v_add_f64_e32 v[46:47], v[50:51], v[46:47]
	v_fma_f64 v[50:51], v[48:49], s[2:3], -v[130:131]
	v_add_f64_e32 v[36:37], v[50:51], v[36:37]
	v_fma_f64 v[50:51], v[48:49], s[20:21], -v[132:133]
	;; [unrolled: 5-line block ×4, first 2 shown]
	s_delay_alu instid0(VALU_DEP_1)
	v_add_f64_e32 v[46:47], v[50:51], v[46:47]
	v_fma_f64 v[50:51], v[40:41], s[20:21], -v[82:83]
	ds_store_2addr_b64 v158, v[46:47], v[36:37] offset0:16 offset1:18
	v_fma_f64 v[36:37], v[76:77], s[6:7], -v[60:61]
	v_fma_f64 v[46:47], v[40:41], s[14:15], -v[68:69]
	;; [unrolled: 1-line block ×3, first 2 shown]
	s_delay_alu instid0(VALU_DEP_3) | instskip(NEXT) | instid1(VALU_DEP_1)
	v_add_f64_e32 v[36:37], v[106:107], v[36:37]
	v_add_f64_e32 v[36:37], v[46:47], v[36:37]
	v_fma_f64 v[46:47], v[76:77], s[2:3], -v[72:73]
	s_delay_alu instid0(VALU_DEP_1) | instskip(NEXT) | instid1(VALU_DEP_1)
	v_add_f64_e32 v[46:47], v[106:107], v[46:47]
	v_add_f64_e32 v[46:47], v[50:51], v[46:47]
	v_fma_f64 v[50:51], v[38:39], s[20:21], -v[84:85]
	s_delay_alu instid0(VALU_DEP_1) | instskip(SKIP_2) | instid1(VALU_DEP_2)
	v_add_f64_e32 v[36:37], v[50:51], v[36:37]
	v_fma_f64 v[50:51], v[38:39], s[14:15], -v[86:87]
	v_fma_f64 v[38:39], v[38:39], s[2:3], -v[66:67]
	v_add_f64_e32 v[46:47], v[50:51], v[46:47]
	v_fma_f64 v[50:51], v[48:49], s[16:17], -v[88:89]
	s_delay_alu instid0(VALU_DEP_1) | instskip(SKIP_1) | instid1(VALU_DEP_1)
	v_add_f64_e32 v[36:37], v[50:51], v[36:37]
	v_fma_f64 v[50:51], v[48:49], s[12:13], -v[90:91]
	v_add_f64_e32 v[46:47], v[50:51], v[46:47]
	v_fma_f64 v[50:51], v[44:45], s[2:3], -v[94:95]
	s_delay_alu instid0(VALU_DEP_1) | instskip(SKIP_1) | instid1(VALU_DEP_1)
	v_add_f64_e32 v[36:37], v[50:51], v[36:37]
	;; [unrolled: 5-line block ×3, first 2 shown]
	v_fma_f64 v[50:51], v[42:43], s[16:17], -v[116:117]
	v_add_f64_e32 v[46:47], v[50:51], v[46:47]
	ds_store_2addr_b64 v158, v[46:47], v[36:37] offset0:20 offset1:22
	v_fma_f64 v[36:37], v[76:77], s[12:13], -v[70:71]
	s_delay_alu instid0(VALU_DEP_1) | instskip(NEXT) | instid1(VALU_DEP_1)
	v_add_f64_e32 v[36:37], v[106:107], v[36:37]
	v_add_f64_e32 v[36:37], v[40:41], v[36:37]
	s_delay_alu instid0(VALU_DEP_1) | instskip(SKIP_1) | instid1(VALU_DEP_1)
	v_add_f64_e32 v[36:37], v[38:39], v[36:37]
	v_fma_f64 v[38:39], v[48:49], s[14:15], -v[62:63]
	v_add_f64_e32 v[36:37], v[38:39], v[36:37]
	v_fma_f64 v[38:39], v[44:45], s[16:17], -v[58:59]
	s_delay_alu instid0(VALU_DEP_1) | instskip(SKIP_1) | instid1(VALU_DEP_1)
	v_add_f64_e32 v[36:37], v[38:39], v[36:37]
	v_fma_f64 v[38:39], v[42:43], s[20:21], -v[56:57]
	v_add_f64_e32 v[36:37], v[38:39], v[36:37]
	ds_store_b64 v158, v[36:37] offset:192
	v_and_b32_e32 v36, 0xff, v143
	global_wb scope:SCOPE_SE
	s_wait_dscnt 0x0
	s_barrier_signal -1
	s_barrier_wait -1
	global_inv scope:SCOPE_SE
	v_mul_lo_u16 v36, 0x4f, v36
	ds_load_2addr_b64 v[44:47], v204 offset0:4 offset1:108
	v_lshrrev_b16 v157, 11, v36
	s_delay_alu instid0(VALU_DEP_1) | instskip(NEXT) | instid1(VALU_DEP_1)
	v_mul_lo_u16 v36, v157, 26
	v_sub_nc_u16 v36, v143, v36
	s_delay_alu instid0(VALU_DEP_1) | instskip(NEXT) | instid1(VALU_DEP_1)
	v_and_b32_e32 v158, 0xff, v36
	v_mul_u32_u24_e32 v36, 12, v158
	s_delay_alu instid0(VALU_DEP_1)
	v_lshlrev_b32_e32 v90, 4, v36
	s_clause 0x1
	global_load_b128 v[36:39], v90, s[4:5] offset:400
	global_load_b128 v[40:43], v90, s[4:5] offset:384
	s_wait_loadcnt_dscnt 0x100
	v_mul_f64_e32 v[48:49], v[44:45], v[38:39]
	s_delay_alu instid0(VALU_DEP_1) | instskip(SKIP_1) | instid1(VALU_DEP_1)
	v_fma_f64 v[64:65], v[32:33], v[36:37], -v[48:49]
	v_mul_f64_e32 v[32:33], v[32:33], v[38:39]
	v_fma_f64 v[58:59], v[44:45], v[36:37], v[32:33]
	s_clause 0x1
	global_load_b128 v[36:39], v90, s[4:5] offset:416
	global_load_b128 v[48:51], v90, s[4:5] offset:432
	s_wait_loadcnt 0x1
	v_mul_f64_e32 v[32:33], v[46:47], v[38:39]
	s_delay_alu instid0(VALU_DEP_1) | instskip(SKIP_1) | instid1(VALU_DEP_1)
	v_fma_f64 v[66:67], v[34:35], v[36:37], -v[32:33]
	v_mul_f64_e32 v[32:33], v[34:35], v[38:39]
	v_fma_f64 v[54:55], v[46:47], v[36:37], v[32:33]
	ds_load_2addr_b64 v[32:35], v156 offset0:84 offset1:188
	s_wait_loadcnt_dscnt 0x0
	v_mul_f64_e32 v[36:37], v[32:33], v[50:51]
	s_delay_alu instid0(VALU_DEP_1) | instskip(SKIP_4) | instid1(VALU_DEP_1)
	v_fma_f64 v[68:69], v[28:29], v[48:49], -v[36:37]
	s_clause 0x1
	global_load_b128 v[36:39], v90, s[4:5] offset:448
	global_load_b128 v[60:63], v90, s[4:5] offset:464
	v_mul_f64_e32 v[28:29], v[28:29], v[50:51]
	v_fma_f64 v[46:47], v[32:33], v[48:49], v[28:29]
	s_wait_loadcnt 0x1
	v_mul_f64_e32 v[28:29], v[34:35], v[38:39]
	s_delay_alu instid0(VALU_DEP_1) | instskip(SKIP_3) | instid1(VALU_DEP_2)
	v_fma_f64 v[70:71], v[30:31], v[36:37], -v[28:29]
	v_mul_f64_e32 v[28:29], v[30:31], v[38:39]
	s_wait_alu 0xf1ff
	v_cndmask_b32_e64 v30, v205, v188, s0
	v_fma_f64 v[50:51], v[34:35], v[36:37], v[28:29]
	v_mov_b32_e32 v29, 0
	s_delay_alu instid0(VALU_DEP_3) | instskip(SKIP_1) | instid1(VALU_DEP_2)
	v_mul_i32_i24_e32 v28, 12, v30
	v_lshlrev_b32_e32 v30, 3, v30
	v_lshlrev_b64_e32 v[28:29], 4, v[28:29]
	s_delay_alu instid0(VALU_DEP_1) | instskip(SKIP_1) | instid1(VALU_DEP_2)
	v_add_co_u32 v28, s1, s4, v28
	s_wait_alu 0xf1ff
	v_add_co_ci_u32_e64 v29, s1, s5, v29, s1
	s_clause 0x1
	global_load_b128 v[31:34], v[28:29], off offset:480
	global_load_b128 v[35:38], v[28:29], off offset:496
	ds_load_2addr_b64 v[74:77], v203 offset0:164 offset1:216
	v_cmp_lt_u32_e64 s1, 25, v188
	s_wait_loadcnt_dscnt 0x100
	v_mul_f64_e32 v[44:45], v[76:77], v[33:34]
	s_delay_alu instid0(VALU_DEP_1) | instskip(SKIP_1) | instid1(VALU_DEP_1)
	v_fma_f64 v[114:115], v[26:27], v[31:32], -v[44:45]
	v_mul_f64_e32 v[26:27], v[26:27], v[33:34]
	v_fma_f64 v[80:81], v[76:77], v[31:32], v[26:27]
	v_mul_f64_e32 v[26:27], v[74:75], v[62:63]
	s_delay_alu instid0(VALU_DEP_1) | instskip(SKIP_1) | instid1(VALU_DEP_1)
	v_fma_f64 v[72:73], v[24:25], v[60:61], -v[26:27]
	v_mul_f64_e32 v[24:25], v[24:25], v[62:63]
	v_fma_f64 v[60:61], v[74:75], v[60:61], v[24:25]
	ds_load_2addr_b64 v[24:27], v201 offset0:12 offset1:64
	s_wait_loadcnt_dscnt 0x0
	v_mul_f64_e32 v[31:32], v[26:27], v[37:38]
	s_delay_alu instid0(VALU_DEP_1) | instskip(SKIP_1) | instid1(VALU_DEP_1)
	v_fma_f64 v[116:117], v[22:23], v[35:36], -v[31:32]
	v_mul_f64_e32 v[22:23], v[22:23], v[37:38]
	v_fma_f64 v[82:83], v[26:27], v[35:36], v[22:23]
	s_clause 0x1
	global_load_b128 v[31:34], v90, s[4:5] offset:480
	global_load_b128 v[35:38], v90, s[4:5] offset:496
	s_wait_loadcnt 0x1
	v_mul_f64_e32 v[22:23], v[24:25], v[33:34]
	s_delay_alu instid0(VALU_DEP_1) | instskip(SKIP_1) | instid1(VALU_DEP_1)
	v_fma_f64 v[74:75], v[20:21], v[31:32], -v[22:23]
	v_mul_f64_e32 v[20:21], v[20:21], v[33:34]
	v_fma_f64 v[62:63], v[24:25], v[31:32], v[20:21]
	s_clause 0x1
	global_load_b128 v[20:23], v[28:29], off offset:512
	global_load_b128 v[24:27], v[28:29], off offset:528
	ds_load_2addr_b64 v[31:34], v201 offset0:116 offset1:168
	s_wait_loadcnt_dscnt 0x100
	v_mul_f64_e32 v[44:45], v[33:34], v[22:23]
	s_delay_alu instid0(VALU_DEP_1) | instskip(SKIP_1) | instid1(VALU_DEP_1)
	v_fma_f64 v[118:119], v[18:19], v[20:21], -v[44:45]
	v_mul_f64_e32 v[18:19], v[18:19], v[22:23]
	v_fma_f64 v[86:87], v[33:34], v[20:21], v[18:19]
	v_mul_f64_e32 v[18:19], v[31:32], v[37:38]
	s_delay_alu instid0(VALU_DEP_1) | instskip(SKIP_1) | instid1(VALU_DEP_1)
	v_fma_f64 v[76:77], v[16:17], v[35:36], -v[18:19]
	v_mul_f64_e32 v[16:17], v[16:17], v[37:38]
	v_fma_f64 v[56:57], v[31:32], v[35:36], v[16:17]
	ds_load_2addr_b64 v[16:19], v176 offset0:92 offset1:144
	s_wait_alu 0xf1ff
	v_cndmask_b32_e64 v35, 0, 0xa90, s1
	s_wait_loadcnt_dscnt 0x0
	v_mul_f64_e32 v[20:21], v[18:19], v[26:27]
	s_delay_alu instid0(VALU_DEP_1) | instskip(SKIP_1) | instid1(VALU_DEP_1)
	v_fma_f64 v[122:123], v[14:15], v[24:25], -v[20:21]
	v_mul_f64_e32 v[14:15], v[14:15], v[26:27]
	v_fma_f64 v[88:89], v[18:19], v[24:25], v[14:15]
	s_clause 0x1
	global_load_b128 v[18:21], v90, s[4:5] offset:512
	global_load_b128 v[22:25], v90, s[4:5] offset:528
	s_wait_loadcnt 0x1
	v_mul_f64_e32 v[14:15], v[16:17], v[20:21]
	s_delay_alu instid0(VALU_DEP_1) | instskip(SKIP_1) | instid1(VALU_DEP_1)
	v_fma_f64 v[78:79], v[12:13], v[18:19], -v[14:15]
	v_mul_f64_e32 v[12:13], v[12:13], v[20:21]
	v_fma_f64 v[52:53], v[16:17], v[18:19], v[12:13]
	s_clause 0x1
	global_load_b128 v[12:15], v[28:29], off offset:544
	global_load_b128 v[16:19], v[28:29], off offset:560
	ds_load_2addr_b64 v[31:34], v202 offset0:68 offset1:120
	s_wait_loadcnt_dscnt 0x100
	v_mul_f64_e32 v[20:21], v[33:34], v[14:15]
	s_delay_alu instid0(VALU_DEP_1) | instskip(SKIP_1) | instid1(VALU_DEP_1)
	v_fma_f64 v[124:125], v[10:11], v[12:13], -v[20:21]
	v_mul_f64_e32 v[10:11], v[10:11], v[14:15]
	v_fma_f64 v[94:95], v[33:34], v[12:13], v[10:11]
	v_mul_f64_e32 v[10:11], v[31:32], v[24:25]
	s_delay_alu instid0(VALU_DEP_1)
	v_fma_f64 v[84:85], v[8:9], v[22:23], -v[10:11]
	v_mul_f64_e32 v[8:9], v[8:9], v[24:25]
	ds_load_2addr_b64 v[10:13], v202 offset0:172 offset1:224
	v_fma_f64 v[48:49], v[31:32], v[22:23], v[8:9]
	s_wait_loadcnt_dscnt 0x0
	v_mul_f64_e32 v[8:9], v[12:13], v[18:19]
	s_delay_alu instid0(VALU_DEP_1) | instskip(SKIP_1) | instid1(VALU_DEP_1)
	v_fma_f64 v[128:129], v[6:7], v[16:17], -v[8:9]
	v_mul_f64_e32 v[6:7], v[6:7], v[18:19]
	v_fma_f64 v[96:97], v[12:13], v[16:17], v[6:7]
	s_clause 0x1
	global_load_b128 v[12:15], v90, s[4:5] offset:544
	global_load_b128 v[6:9], v90, s[4:5] offset:560
	s_wait_loadcnt 0x1
	v_mul_f64_e32 v[16:17], v[10:11], v[14:15]
	s_delay_alu instid0(VALU_DEP_1) | instskip(SKIP_1) | instid1(VALU_DEP_1)
	v_fma_f64 v[90:91], v[4:5], v[12:13], -v[16:17]
	v_mul_f64_e32 v[4:5], v[4:5], v[14:15]
	v_fma_f64 v[44:45], v[10:11], v[12:13], v[4:5]
	ds_load_b64 v[4:5], v154
	ds_load_b64 v[10:11], v153
	;; [unrolled: 1-line block ×3, first 2 shown]
	s_clause 0x1
	global_load_b128 v[12:15], v[28:29], off offset:384
	global_load_b128 v[16:19], v[28:29], off offset:400
	s_wait_loadcnt_dscnt 0x101
	v_mul_f64_e32 v[20:21], v[10:11], v[14:15]
	v_mul_f64_e32 v[14:15], v[112:113], v[14:15]
	s_delay_alu instid0(VALU_DEP_2) | instskip(NEXT) | instid1(VALU_DEP_2)
	v_fma_f64 v[140:141], v[112:113], v[12:13], -v[20:21]
	v_fma_f64 v[126:127], v[10:11], v[12:13], v[14:15]
	s_wait_loadcnt 0x0
	v_mul_f64_e32 v[10:11], v[4:5], v[18:19]
	s_delay_alu instid0(VALU_DEP_1) | instskip(SKIP_1) | instid1(VALU_DEP_1)
	v_fma_f64 v[138:139], v[110:111], v[16:17], -v[10:11]
	v_mul_f64_e32 v[10:11], v[110:111], v[18:19]
	v_fma_f64 v[110:111], v[4:5], v[16:17], v[10:11]
	ds_load_b64 v[4:5], v149
	ds_load_b64 v[18:19], v146
	;; [unrolled: 1-line block ×4, first 2 shown]
	s_clause 0x1
	global_load_b128 v[10:13], v[28:29], off offset:416
	global_load_b128 v[14:17], v[28:29], off offset:432
	s_wait_loadcnt_dscnt 0x103
	v_mul_f64_e32 v[24:25], v[4:5], v[12:13]
	v_mul_f64_e32 v[12:13], v[108:109], v[12:13]
	s_delay_alu instid0(VALU_DEP_2) | instskip(NEXT) | instid1(VALU_DEP_2)
	v_fma_f64 v[136:137], v[108:109], v[10:11], -v[24:25]
	v_fma_f64 v[108:109], v[4:5], v[10:11], v[12:13]
	s_wait_loadcnt_dscnt 0x2
	v_mul_f64_e32 v[4:5], v[18:19], v[16:17]
	s_delay_alu instid0(VALU_DEP_3) | instskip(NEXT) | instid1(VALU_DEP_2)
	v_add_f64_e32 v[24:25], v[136:137], v[122:123]
	v_fma_f64 v[134:135], v[104:105], v[14:15], -v[4:5]
	v_mul_f64_e32 v[4:5], v[104:105], v[16:17]
	s_delay_alu instid0(VALU_DEP_2) | instskip(NEXT) | instid1(VALU_DEP_2)
	v_add_f64_e32 v[33:34], v[134:135], v[118:119]
	v_fma_f64 v[104:105], v[18:19], v[14:15], v[4:5]
	s_clause 0x1
	global_load_b128 v[10:13], v[28:29], off offset:448
	global_load_b128 v[14:17], v[28:29], off offset:464
	ds_load_2addr_b64 v[36:39], v175 offset1:156
	s_wait_loadcnt_dscnt 0x102
	v_mul_f64_e32 v[4:5], v[20:21], v[12:13]
	s_delay_alu instid0(VALU_DEP_1) | instskip(SKIP_2) | instid1(VALU_DEP_3)
	v_fma_f64 v[132:133], v[100:101], v[10:11], -v[4:5]
	v_mul_f64_e32 v[4:5], v[100:101], v[12:13]
	v_add_f64_e32 v[12:13], v[138:139], v[124:125]
	v_add_f64_e32 v[148:149], v[132:133], v[116:117]
	s_delay_alu instid0(VALU_DEP_3) | instskip(SKIP_2) | instid1(VALU_DEP_1)
	v_fma_f64 v[112:113], v[20:21], v[10:11], v[4:5]
	s_wait_loadcnt_dscnt 0x1
	v_mul_f64_e32 v[4:5], v[22:23], v[16:17]
	v_fma_f64 v[130:131], v[98:99], v[14:15], -v[4:5]
	v_mul_f64_e32 v[4:5], v[98:99], v[16:17]
	s_delay_alu instid0(VALU_DEP_2) | instskip(NEXT) | instid1(VALU_DEP_2)
	v_add_f64_e32 v[167:168], v[130:131], v[114:115]
	v_fma_f64 v[120:121], v[22:23], v[14:15], v[4:5]
	ds_load_b64 v[4:5], v175 offset:10400
	global_wb scope:SCOPE_SE
	s_wait_dscnt 0x0
	s_barrier_signal -1
	s_barrier_wait -1
	global_inv scope:SCOPE_SE
	v_mul_f64_e32 v[10:11], v[4:5], v[8:9]
	v_mul_f64_e32 v[8:9], v[102:103], v[8:9]
	s_delay_alu instid0(VALU_DEP_2) | instskip(NEXT) | instid1(VALU_DEP_2)
	v_fma_f64 v[100:101], v[102:103], v[6:7], -v[10:11]
	v_fma_f64 v[98:99], v[4:5], v[6:7], v[8:9]
	v_mul_f64_e32 v[4:5], v[38:39], v[42:43]
	v_add_f64_e64 v[10:11], v[110:111], -v[94:95]
	s_delay_alu instid0(VALU_DEP_2) | instskip(SKIP_2) | instid1(VALU_DEP_4)
	v_fma_f64 v[102:103], v[2:3], v[40:41], -v[4:5]
	v_mul_f64_e32 v[2:3], v[2:3], v[42:43]
	v_add_f64_e32 v[4:5], v[140:141], v[128:129]
	v_mul_f64_e32 v[14:15], s[18:19], v[10:11]
	v_mul_f64_e32 v[20:21], s[24:25], v[10:11]
	;; [unrolled: 1-line block ×4, first 2 shown]
	v_fma_f64 v[38:39], v[38:39], v[40:41], v[2:3]
	v_add_f64_e64 v[2:3], v[126:127], -v[96:97]
	v_fma_f64 v[16:17], v[12:13], s[14:15], -v[14:15]
	v_fma_f64 v[22:23], v[12:13], s[20:21], -v[20:21]
	;; [unrolled: 1-line block ×4, first 2 shown]
	v_mul_f64_e32 v[6:7], s[26:27], v[2:3]
	s_delay_alu instid0(VALU_DEP_1) | instskip(SKIP_1) | instid1(VALU_DEP_2)
	v_fma_f64 v[8:9], v[4:5], s[6:7], -v[6:7]
	v_fma_f64 v[6:7], v[4:5], s[6:7], v[6:7]
	v_add_f64_e32 v[8:9], v[0:1], v[8:9]
	s_delay_alu instid0(VALU_DEP_2) | instskip(NEXT) | instid1(VALU_DEP_2)
	v_add_f64_e32 v[6:7], v[0:1], v[6:7]
	v_add_f64_e32 v[8:9], v[16:17], v[8:9]
	v_mul_f64_e32 v[16:17], s[28:29], v[2:3]
	s_delay_alu instid0(VALU_DEP_1) | instskip(NEXT) | instid1(VALU_DEP_1)
	v_fma_f64 v[18:19], v[4:5], s[2:3], -v[16:17]
	v_add_f64_e32 v[18:19], v[0:1], v[18:19]
	s_delay_alu instid0(VALU_DEP_1) | instskip(SKIP_1) | instid1(VALU_DEP_1)
	v_add_f64_e32 v[18:19], v[22:23], v[18:19]
	v_add_f64_e64 v[22:23], v[108:109], -v[88:89]
	v_mul_f64_e32 v[26:27], s[24:25], v[22:23]
	s_delay_alu instid0(VALU_DEP_1) | instskip(NEXT) | instid1(VALU_DEP_1)
	v_fma_f64 v[28:29], v[24:25], s[20:21], -v[26:27]
	v_add_f64_e32 v[8:9], v[28:29], v[8:9]
	v_mul_f64_e32 v[28:29], s[44:45], v[22:23]
	s_delay_alu instid0(VALU_DEP_1) | instskip(NEXT) | instid1(VALU_DEP_1)
	v_fma_f64 v[31:32], v[24:25], s[14:15], -v[28:29]
	v_add_f64_e32 v[18:19], v[31:32], v[18:19]
	v_add_f64_e64 v[31:32], v[104:105], -v[86:87]
	s_delay_alu instid0(VALU_DEP_1) | instskip(NEXT) | instid1(VALU_DEP_1)
	v_mul_f64_e32 v[40:41], s[36:37], v[31:32]
	v_fma_f64 v[42:43], v[33:34], s[16:17], -v[40:41]
	s_delay_alu instid0(VALU_DEP_1) | instskip(SKIP_1) | instid1(VALU_DEP_1)
	v_add_f64_e32 v[8:9], v[42:43], v[8:9]
	v_mul_f64_e32 v[42:43], s[30:31], v[31:32]
	v_fma_f64 v[146:147], v[33:34], s[12:13], -v[42:43]
	s_delay_alu instid0(VALU_DEP_1) | instskip(SKIP_1) | instid1(VALU_DEP_1)
	v_add_f64_e32 v[18:19], v[146:147], v[18:19]
	v_add_f64_e64 v[146:147], v[112:113], -v[82:83]
	v_mul_f64_e32 v[159:160], s[34:35], v[146:147]
	s_delay_alu instid0(VALU_DEP_1) | instskip(NEXT) | instid1(VALU_DEP_1)
	v_fma_f64 v[161:162], v[148:149], s[2:3], -v[159:160]
	v_add_f64_e32 v[8:9], v[161:162], v[8:9]
	v_mul_f64_e32 v[161:162], s[26:27], v[146:147]
	s_delay_alu instid0(VALU_DEP_1) | instskip(NEXT) | instid1(VALU_DEP_1)
	v_fma_f64 v[163:164], v[148:149], s[6:7], -v[161:162]
	v_add_f64_e32 v[18:19], v[163:164], v[18:19]
	v_add_f64_e64 v[163:164], v[120:121], -v[80:81]
	s_delay_alu instid0(VALU_DEP_1) | instskip(SKIP_1) | instid1(VALU_DEP_2)
	v_mul_f64_e32 v[165:166], s[30:31], v[163:164]
	v_mul_f64_e32 v[177:178], s[22:23], v[163:164]
	v_fma_f64 v[172:173], v[167:168], s[12:13], -v[165:166]
	s_delay_alu instid0(VALU_DEP_1) | instskip(NEXT) | instid1(VALU_DEP_3)
	v_add_f64_e32 v[8:9], v[172:173], v[8:9]
	v_fma_f64 v[172:173], v[167:168], s[16:17], -v[177:178]
	s_delay_alu instid0(VALU_DEP_1) | instskip(SKIP_4) | instid1(VALU_DEP_1)
	v_add_f64_e32 v[18:19], v[172:173], v[18:19]
	v_add3_u32 v172, 0, v35, v30
	v_sub_nc_u32_e32 v173, 0, v151
	ds_store_2addr_b64 v172, v[8:9], v[18:19] offset0:52 offset1:78
	v_mul_f64_e32 v[8:9], s[18:19], v[2:3]
	v_fma_f64 v[18:19], v[4:5], s[14:15], -v[8:9]
	v_fma_f64 v[8:9], v[4:5], s[14:15], v[8:9]
	s_delay_alu instid0(VALU_DEP_2) | instskip(NEXT) | instid1(VALU_DEP_2)
	v_add_f64_e32 v[18:19], v[0:1], v[18:19]
	v_add_f64_e32 v[8:9], v[0:1], v[8:9]
	s_delay_alu instid0(VALU_DEP_2) | instskip(SKIP_1) | instid1(VALU_DEP_1)
	v_add_f64_e32 v[18:19], v[183:184], v[18:19]
	v_mul_f64_e32 v[183:184], s[22:23], v[2:3]
	v_fma_f64 v[185:186], v[4:5], s[16:17], -v[183:184]
	s_delay_alu instid0(VALU_DEP_1) | instskip(NEXT) | instid1(VALU_DEP_1)
	v_add_f64_e32 v[185:186], v[0:1], v[185:186]
	v_add_f64_e32 v[185:186], v[208:209], v[185:186]
	v_mul_f64_e32 v[208:209], s[30:31], v[22:23]
	s_delay_alu instid0(VALU_DEP_1) | instskip(NEXT) | instid1(VALU_DEP_1)
	v_fma_f64 v[210:211], v[24:25], s[12:13], -v[208:209]
	v_add_f64_e32 v[18:19], v[210:211], v[18:19]
	v_mul_f64_e32 v[210:211], s[26:27], v[22:23]
	s_delay_alu instid0(VALU_DEP_1) | instskip(NEXT) | instid1(VALU_DEP_1)
	v_fma_f64 v[212:213], v[24:25], s[6:7], -v[210:211]
	;; [unrolled: 4-line block ×8, first 2 shown]
	v_add_f64_e32 v[185:186], v[224:225], v[185:186]
	v_mul_f64_e32 v[224:225], s[30:31], v[10:11]
	ds_store_2addr_b64 v172, v[18:19], v[185:186] offset0:104 offset1:130
	v_mul_f64_e32 v[18:19], s[24:25], v[2:3]
	v_fma_f64 v[226:227], v[12:13], s[12:13], -v[224:225]
	v_fma_f64 v[224:225], v[12:13], s[12:13], v[224:225]
	v_mul_f64_e32 v[2:3], s[42:43], v[2:3]
	s_delay_alu instid0(VALU_DEP_4) | instskip(SKIP_1) | instid1(VALU_DEP_2)
	v_fma_f64 v[185:186], v[4:5], s[20:21], -v[18:19]
	v_fma_f64 v[18:19], v[4:5], s[20:21], v[18:19]
	v_add_f64_e32 v[185:186], v[0:1], v[185:186]
	s_delay_alu instid0(VALU_DEP_2) | instskip(NEXT) | instid1(VALU_DEP_2)
	v_add_f64_e32 v[18:19], v[0:1], v[18:19]
	v_add_f64_e32 v[185:186], v[226:227], v[185:186]
	s_delay_alu instid0(VALU_DEP_2) | instskip(SKIP_1) | instid1(VALU_DEP_1)
	v_add_f64_e32 v[18:19], v[224:225], v[18:19]
	v_mul_f64_e32 v[224:225], s[22:23], v[22:23]
	v_fma_f64 v[226:227], v[24:25], s[16:17], -v[224:225]
	v_fma_f64 v[224:225], v[24:25], s[16:17], v[224:225]
	s_delay_alu instid0(VALU_DEP_2) | instskip(NEXT) | instid1(VALU_DEP_2)
	v_add_f64_e32 v[185:186], v[226:227], v[185:186]
	v_add_f64_e32 v[18:19], v[224:225], v[18:19]
	v_mul_f64_e32 v[224:225], s[38:39], v[31:32]
	s_delay_alu instid0(VALU_DEP_1) | instskip(SKIP_1) | instid1(VALU_DEP_2)
	v_fma_f64 v[226:227], v[33:34], s[6:7], -v[224:225]
	v_fma_f64 v[224:225], v[33:34], s[6:7], v[224:225]
	v_add_f64_e32 v[185:186], v[226:227], v[185:186]
	s_delay_alu instid0(VALU_DEP_2) | instskip(SKIP_1) | instid1(VALU_DEP_1)
	v_add_f64_e32 v[18:19], v[224:225], v[18:19]
	v_mul_f64_e32 v[224:225], s[18:19], v[146:147]
	v_fma_f64 v[226:227], v[148:149], s[14:15], -v[224:225]
	v_fma_f64 v[224:225], v[148:149], s[14:15], v[224:225]
	s_delay_alu instid0(VALU_DEP_2) | instskip(NEXT) | instid1(VALU_DEP_2)
	v_add_f64_e32 v[185:186], v[226:227], v[185:186]
	v_add_f64_e32 v[18:19], v[224:225], v[18:19]
	v_mul_f64_e32 v[224:225], s[34:35], v[163:164]
	s_delay_alu instid0(VALU_DEP_1) | instskip(SKIP_1) | instid1(VALU_DEP_2)
	v_fma_f64 v[226:227], v[167:168], s[2:3], -v[224:225]
	v_fma_f64 v[224:225], v[167:168], s[2:3], v[224:225]
	v_add_f64_e32 v[185:186], v[226:227], v[185:186]
	s_delay_alu instid0(VALU_DEP_2) | instskip(SKIP_3) | instid1(VALU_DEP_2)
	v_add_f64_e32 v[18:19], v[224:225], v[18:19]
	ds_store_2addr_b64 v172, v[185:186], v[18:19] offset0:156 offset1:182
	v_fma_f64 v[18:19], v[12:13], s[16:17], v[181:182]
	v_fma_f64 v[181:182], v[12:13], s[2:3], v[206:207]
	v_add_f64_e32 v[8:9], v[18:19], v[8:9]
	v_fma_f64 v[18:19], v[4:5], s[16:17], v[183:184]
	s_delay_alu instid0(VALU_DEP_1) | instskip(NEXT) | instid1(VALU_DEP_1)
	v_add_f64_e32 v[18:19], v[0:1], v[18:19]
	v_add_f64_e32 v[18:19], v[181:182], v[18:19]
	v_fma_f64 v[181:182], v[24:25], s[12:13], v[208:209]
	s_delay_alu instid0(VALU_DEP_1) | instskip(SKIP_1) | instid1(VALU_DEP_1)
	v_add_f64_e32 v[8:9], v[181:182], v[8:9]
	v_fma_f64 v[181:182], v[24:25], s[6:7], v[210:211]
	v_add_f64_e32 v[18:19], v[181:182], v[18:19]
	v_fma_f64 v[181:182], v[33:34], s[2:3], v[212:213]
	s_delay_alu instid0(VALU_DEP_1) | instskip(SKIP_1) | instid1(VALU_DEP_1)
	v_add_f64_e32 v[8:9], v[181:182], v[8:9]
	v_fma_f64 v[181:182], v[33:34], s[20:21], v[214:215]
	;; [unrolled: 5-line block ×4, first 2 shown]
	v_add_f64_e32 v[18:19], v[181:182], v[18:19]
	ds_store_2addr_b64 v172, v[18:19], v[8:9] offset0:208 offset1:234
	v_fma_f64 v[8:9], v[12:13], s[14:15], v[14:15]
	v_fma_f64 v[14:15], v[12:13], s[20:21], v[20:21]
	v_add_f64_e32 v[20:21], v[64:65], v[90:91]
	s_delay_alu instid0(VALU_DEP_3) | instskip(SKIP_1) | instid1(VALU_DEP_1)
	v_add_f64_e32 v[6:7], v[8:9], v[6:7]
	v_fma_f64 v[8:9], v[4:5], s[2:3], v[16:17]
	v_add_f64_e32 v[8:9], v[0:1], v[8:9]
	s_delay_alu instid0(VALU_DEP_1) | instskip(SKIP_1) | instid1(VALU_DEP_1)
	v_add_f64_e32 v[8:9], v[14:15], v[8:9]
	v_fma_f64 v[14:15], v[24:25], s[20:21], v[26:27]
	v_add_f64_e32 v[6:7], v[14:15], v[6:7]
	v_fma_f64 v[14:15], v[24:25], s[14:15], v[28:29]
	s_delay_alu instid0(VALU_DEP_1) | instskip(SKIP_1) | instid1(VALU_DEP_1)
	v_add_f64_e32 v[8:9], v[14:15], v[8:9]
	v_fma_f64 v[14:15], v[33:34], s[16:17], v[40:41]
	v_add_f64_e32 v[6:7], v[14:15], v[6:7]
	v_fma_f64 v[14:15], v[33:34], s[12:13], v[42:43]
	;; [unrolled: 5-line block ×3, first 2 shown]
	s_delay_alu instid0(VALU_DEP_1) | instskip(SKIP_2) | instid1(VALU_DEP_2)
	v_add_f64_e32 v[8:9], v[14:15], v[8:9]
	v_fma_f64 v[14:15], v[167:168], s[12:13], v[165:166]
	v_add_nc_u32_e32 v166, 0x800, v172
	v_add_f64_e32 v[6:7], v[14:15], v[6:7]
	v_fma_f64 v[14:15], v[167:168], s[16:17], v[177:178]
	s_delay_alu instid0(VALU_DEP_1) | instskip(SKIP_3) | instid1(VALU_DEP_2)
	v_add_f64_e32 v[8:9], v[14:15], v[8:9]
	ds_store_2addr_b64 v166, v[8:9], v[6:7] offset0:4 offset1:30
	v_fma_f64 v[6:7], v[4:5], s[12:13], -v[2:3]
	v_fma_f64 v[2:3], v[4:5], s[12:13], v[2:3]
	v_add_f64_e32 v[4:5], v[0:1], v[6:7]
	s_delay_alu instid0(VALU_DEP_2) | instskip(SKIP_2) | instid1(VALU_DEP_2)
	v_add_f64_e32 v[2:3], v[0:1], v[2:3]
	v_add_f64_e32 v[0:1], v[0:1], v[140:141]
	v_mul_f64_e32 v[6:7], s[26:27], v[10:11]
	v_add_f64_e32 v[0:1], v[0:1], v[138:139]
	s_delay_alu instid0(VALU_DEP_2) | instskip(NEXT) | instid1(VALU_DEP_2)
	v_fma_f64 v[8:9], v[12:13], s[6:7], -v[6:7]
	v_add_f64_e32 v[0:1], v[0:1], v[136:137]
	s_delay_alu instid0(VALU_DEP_2) | instskip(SKIP_1) | instid1(VALU_DEP_3)
	v_add_f64_e32 v[4:5], v[8:9], v[4:5]
	v_mul_f64_e32 v[8:9], s[28:29], v[22:23]
	v_add_f64_e32 v[0:1], v[0:1], v[134:135]
	s_delay_alu instid0(VALU_DEP_2) | instskip(NEXT) | instid1(VALU_DEP_2)
	v_fma_f64 v[10:11], v[24:25], s[2:3], -v[8:9]
	v_add_f64_e32 v[0:1], v[0:1], v[132:133]
	s_delay_alu instid0(VALU_DEP_2) | instskip(SKIP_1) | instid1(VALU_DEP_3)
	;; [unrolled: 7-line block ×5, first 2 shown]
	v_add_f64_e32 v[4:5], v[18:19], v[4:5]
	v_add_f64_e64 v[18:19], v[58:59], -v[44:45]
	v_add_f64_e32 v[0:1], v[0:1], v[128:129]
	s_delay_alu instid0(VALU_DEP_2)
	v_mul_f64_e32 v[22:23], s[26:27], v[18:19]
	v_mul_f64_e32 v[212:213], s[34:35], v[18:19]
	ds_store_2addr_b64 v172, v[0:1], v[4:5] offset1:26
	v_fma_f64 v[0:1], v[12:13], s[6:7], v[6:7]
	v_fma_f64 v[4:5], v[24:25], s[2:3], v[8:9]
	;; [unrolled: 1-line block ×5, first 2 shown]
	v_add_f64_e32 v[12:13], v[102:103], v[100:101]
	v_fma_f64 v[24:25], v[20:21], s[6:7], -v[22:23]
	v_fma_f64 v[214:215], v[20:21], s[2:3], -v[212:213]
	v_add_f64_e32 v[0:1], v[0:1], v[2:3]
	v_add_f64_e64 v[2:3], v[38:39], -v[98:99]
	s_delay_alu instid0(VALU_DEP_2) | instskip(NEXT) | instid1(VALU_DEP_2)
	v_add_f64_e32 v[0:1], v[4:5], v[0:1]
	v_mul_f64_e32 v[14:15], s[42:43], v[2:3]
	v_add_f64_e64 v[4:5], v[54:55], -v[48:49]
	s_delay_alu instid0(VALU_DEP_3) | instskip(NEXT) | instid1(VALU_DEP_3)
	v_add_f64_e32 v[0:1], v[6:7], v[0:1]
	v_fma_f64 v[16:17], v[12:13], s[12:13], -v[14:15]
	s_delay_alu instid0(VALU_DEP_3) | instskip(SKIP_1) | instid1(VALU_DEP_4)
	v_mul_f64_e32 v[26:27], s[28:29], v[4:5]
	v_add_f64_e64 v[6:7], v[46:47], -v[52:53]
	v_add_f64_e32 v[0:1], v[8:9], v[0:1]
	s_delay_alu instid0(VALU_DEP_4) | instskip(SKIP_1) | instid1(VALU_DEP_4)
	v_add_f64_e32 v[16:17], v[92:93], v[16:17]
	v_add_f64_e64 v[8:9], v[50:51], -v[56:57]
	v_mul_f64_e32 v[30:31], s[18:19], v[6:7]
	s_delay_alu instid0(VALU_DEP_4) | instskip(NEXT) | instid1(VALU_DEP_4)
	v_add_f64_e32 v[0:1], v[10:11], v[0:1]
	v_add_f64_e32 v[16:17], v[24:25], v[16:17]
	;; [unrolled: 1-line block ×3, first 2 shown]
	v_mul_f64_e32 v[34:35], s[22:23], v[8:9]
	v_add_f64_e64 v[10:11], v[60:61], -v[62:63]
	ds_store_b64 v172, v[0:1] offset:2496
	v_and_b32_e32 v0, 0xffff, v157
	v_lshlrev_b32_e32 v1, 3, v158
	v_fma_f64 v[28:29], v[24:25], s[2:3], -v[26:27]
	v_mul_f64_e32 v[42:43], s[24:25], v[10:11]
	v_mul_f64_e32 v[158:159], s[24:25], v[18:19]
	v_mul_u32_u24_e32 v0, 0xa90, v0
	s_delay_alu instid0(VALU_DEP_1) | instskip(SKIP_4) | instid1(VALU_DEP_4)
	v_add3_u32 v177, 0, v0, v1
	v_add_f64_e32 v[0:1], v[92:93], v[102:103]
	v_add_f64_e32 v[16:17], v[28:29], v[16:17]
	;; [unrolled: 1-line block ×3, first 2 shown]
	v_fma_f64 v[160:161], v[20:21], s[20:21], -v[158:159]
	v_add_f64_e32 v[0:1], v[0:1], v[64:65]
	s_delay_alu instid0(VALU_DEP_3) | instskip(NEXT) | instid1(VALU_DEP_2)
	v_fma_f64 v[32:33], v[28:29], s[14:15], -v[30:31]
	v_add_f64_e32 v[0:1], v[0:1], v[66:67]
	s_delay_alu instid0(VALU_DEP_2) | instskip(SKIP_1) | instid1(VALU_DEP_3)
	v_add_f64_e32 v[16:17], v[32:33], v[16:17]
	v_add_f64_e32 v[32:33], v[70:71], v[76:77]
	;; [unrolled: 1-line block ×3, first 2 shown]
	s_delay_alu instid0(VALU_DEP_2) | instskip(NEXT) | instid1(VALU_DEP_2)
	v_fma_f64 v[40:41], v[32:33], s[16:17], -v[34:35]
	v_add_f64_e32 v[0:1], v[0:1], v[70:71]
	s_delay_alu instid0(VALU_DEP_2) | instskip(SKIP_1) | instid1(VALU_DEP_3)
	v_add_f64_e32 v[16:17], v[40:41], v[16:17]
	v_add_f64_e32 v[40:41], v[72:73], v[74:75]
	v_add_f64_e32 v[0:1], v[0:1], v[72:73]
	s_delay_alu instid0(VALU_DEP_2) | instskip(NEXT) | instid1(VALU_DEP_2)
	v_fma_f64 v[146:147], v[40:41], s[20:21], -v[42:43]
	v_add_f64_e32 v[0:1], v[0:1], v[74:75]
	s_delay_alu instid0(VALU_DEP_2) | instskip(SKIP_1) | instid1(VALU_DEP_3)
	v_add_f64_e32 v[16:17], v[146:147], v[16:17]
	v_mul_f64_e32 v[146:147], s[18:19], v[18:19]
	v_add_f64_e32 v[0:1], v[0:1], v[76:77]
	s_delay_alu instid0(VALU_DEP_2) | instskip(NEXT) | instid1(VALU_DEP_2)
	v_fma_f64 v[148:149], v[20:21], s[14:15], -v[146:147]
	v_add_f64_e32 v[0:1], v[0:1], v[78:79]
	s_delay_alu instid0(VALU_DEP_1) | instskip(NEXT) | instid1(VALU_DEP_1)
	v_add_f64_e32 v[0:1], v[0:1], v[84:85]
	v_add_f64_e32 v[0:1], v[0:1], v[90:91]
	s_delay_alu instid0(VALU_DEP_1) | instskip(SKIP_2) | instid1(VALU_DEP_1)
	v_add_f64_e32 v[0:1], v[0:1], v[100:101]
	ds_store_2addr_b64 v177, v[0:1], v[16:17] offset1:26
	v_mul_f64_e32 v[0:1], s[26:27], v[2:3]
	v_fma_f64 v[16:17], v[12:13], s[6:7], -v[0:1]
	v_fma_f64 v[0:1], v[12:13], s[6:7], v[0:1]
	s_delay_alu instid0(VALU_DEP_2) | instskip(NEXT) | instid1(VALU_DEP_2)
	v_add_f64_e32 v[16:17], v[92:93], v[16:17]
	v_add_f64_e32 v[0:1], v[92:93], v[0:1]
	s_delay_alu instid0(VALU_DEP_2) | instskip(SKIP_1) | instid1(VALU_DEP_1)
	v_add_f64_e32 v[16:17], v[148:149], v[16:17]
	v_mul_f64_e32 v[148:149], s[28:29], v[2:3]
	v_fma_f64 v[156:157], v[12:13], s[2:3], -v[148:149]
	s_delay_alu instid0(VALU_DEP_1) | instskip(NEXT) | instid1(VALU_DEP_1)
	v_add_f64_e32 v[156:157], v[92:93], v[156:157]
	v_add_f64_e32 v[156:157], v[160:161], v[156:157]
	v_mul_f64_e32 v[160:161], s[24:25], v[4:5]
	s_delay_alu instid0(VALU_DEP_1) | instskip(NEXT) | instid1(VALU_DEP_1)
	v_fma_f64 v[162:163], v[24:25], s[20:21], -v[160:161]
	v_add_f64_e32 v[16:17], v[162:163], v[16:17]
	v_mul_f64_e32 v[162:163], s[44:45], v[4:5]
	s_delay_alu instid0(VALU_DEP_1) | instskip(NEXT) | instid1(VALU_DEP_1)
	v_fma_f64 v[164:165], v[24:25], s[14:15], -v[162:163]
	;; [unrolled: 4-line block ×8, first 2 shown]
	v_add_f64_e32 v[156:157], v[206:207], v[156:157]
	v_mul_f64_e32 v[206:207], s[36:37], v[18:19]
	v_mul_f64_e32 v[18:19], s[30:31], v[18:19]
	ds_store_2addr_b64 v177, v[16:17], v[156:157] offset0:52 offset1:78
	v_mul_f64_e32 v[16:17], s[18:19], v[2:3]
	v_fma_f64 v[208:209], v[20:21], s[16:17], -v[206:207]
	s_delay_alu instid0(VALU_DEP_2) | instskip(NEXT) | instid1(VALU_DEP_1)
	v_fma_f64 v[156:157], v[12:13], s[14:15], -v[16:17]
	v_add_f64_e32 v[156:157], v[92:93], v[156:157]
	s_delay_alu instid0(VALU_DEP_1) | instskip(SKIP_2) | instid1(VALU_DEP_2)
	v_add_f64_e32 v[156:157], v[208:209], v[156:157]
	v_mul_f64_e32 v[208:209], s[22:23], v[2:3]
	v_mul_f64_e32 v[2:3], s[24:25], v[2:3]
	v_fma_f64 v[210:211], v[12:13], s[16:17], -v[208:209]
	s_delay_alu instid0(VALU_DEP_1) | instskip(NEXT) | instid1(VALU_DEP_1)
	v_add_f64_e32 v[210:211], v[92:93], v[210:211]
	v_add_f64_e32 v[210:211], v[214:215], v[210:211]
	v_mul_f64_e32 v[214:215], s[30:31], v[4:5]
	s_delay_alu instid0(VALU_DEP_1) | instskip(NEXT) | instid1(VALU_DEP_1)
	v_fma_f64 v[216:217], v[24:25], s[12:13], -v[214:215]
	v_add_f64_e32 v[156:157], v[216:217], v[156:157]
	v_mul_f64_e32 v[216:217], s[26:27], v[4:5]
	v_mul_f64_e32 v[4:5], s[22:23], v[4:5]
	s_delay_alu instid0(VALU_DEP_2) | instskip(NEXT) | instid1(VALU_DEP_1)
	v_fma_f64 v[218:219], v[24:25], s[6:7], -v[216:217]
	v_add_f64_e32 v[210:211], v[218:219], v[210:211]
	v_mul_f64_e32 v[218:219], s[28:29], v[6:7]
	s_delay_alu instid0(VALU_DEP_1) | instskip(NEXT) | instid1(VALU_DEP_1)
	v_fma_f64 v[220:221], v[28:29], s[2:3], -v[218:219]
	v_add_f64_e32 v[156:157], v[220:221], v[156:157]
	v_mul_f64_e32 v[220:221], s[40:41], v[6:7]
	s_delay_alu instid0(VALU_DEP_1) | instskip(NEXT) | instid1(VALU_DEP_1)
	;; [unrolled: 4-line block ×6, first 2 shown]
	v_fma_f64 v[230:231], v[40:41], s[14:15], -v[228:229]
	v_add_f64_e32 v[210:211], v[230:231], v[210:211]
	ds_store_2addr_b64 v177, v[156:157], v[210:211] offset0:104 offset1:130
	v_fma_f64 v[156:157], v[12:13], s[20:21], -v[2:3]
	v_fma_f64 v[2:3], v[12:13], s[20:21], v[2:3]
	v_fma_f64 v[210:211], v[20:21], s[12:13], -v[18:19]
	v_fma_f64 v[18:19], v[20:21], s[12:13], v[18:19]
	s_delay_alu instid0(VALU_DEP_4) | instskip(NEXT) | instid1(VALU_DEP_4)
	v_add_f64_e32 v[156:157], v[92:93], v[156:157]
	v_add_f64_e32 v[2:3], v[92:93], v[2:3]
	s_delay_alu instid0(VALU_DEP_2) | instskip(NEXT) | instid1(VALU_DEP_2)
	v_add_f64_e32 v[156:157], v[210:211], v[156:157]
	v_add_f64_e32 v[2:3], v[18:19], v[2:3]
	v_fma_f64 v[18:19], v[24:25], s[16:17], -v[4:5]
	v_fma_f64 v[4:5], v[24:25], s[16:17], v[4:5]
	s_delay_alu instid0(VALU_DEP_2) | instskip(NEXT) | instid1(VALU_DEP_2)
	v_add_f64_e32 v[18:19], v[18:19], v[156:157]
	v_add_f64_e32 v[2:3], v[4:5], v[2:3]
	v_mul_f64_e32 v[4:5], s[38:39], v[6:7]
	s_delay_alu instid0(VALU_DEP_1) | instskip(SKIP_1) | instid1(VALU_DEP_2)
	v_fma_f64 v[6:7], v[28:29], s[6:7], -v[4:5]
	v_fma_f64 v[4:5], v[28:29], s[6:7], v[4:5]
	v_add_f64_e32 v[6:7], v[6:7], v[18:19]
	s_delay_alu instid0(VALU_DEP_2) | instskip(SKIP_1) | instid1(VALU_DEP_1)
	v_add_f64_e32 v[2:3], v[4:5], v[2:3]
	v_mul_f64_e32 v[4:5], s[18:19], v[8:9]
	v_fma_f64 v[8:9], v[32:33], s[14:15], -v[4:5]
	v_fma_f64 v[4:5], v[32:33], s[14:15], v[4:5]
	s_delay_alu instid0(VALU_DEP_2) | instskip(NEXT) | instid1(VALU_DEP_2)
	v_add_f64_e32 v[6:7], v[8:9], v[6:7]
	v_add_f64_e32 v[2:3], v[4:5], v[2:3]
	v_mul_f64_e32 v[4:5], s[34:35], v[10:11]
	v_fma_f64 v[10:11], v[20:21], s[20:21], v[158:159]
	s_delay_alu instid0(VALU_DEP_2) | instskip(SKIP_1) | instid1(VALU_DEP_2)
	v_fma_f64 v[8:9], v[40:41], s[2:3], -v[4:5]
	v_fma_f64 v[4:5], v[40:41], s[2:3], v[4:5]
	v_add_f64_e32 v[6:7], v[8:9], v[6:7]
	s_delay_alu instid0(VALU_DEP_2)
	v_add_f64_e32 v[2:3], v[4:5], v[2:3]
	v_fma_f64 v[4:5], v[20:21], s[16:17], v[206:207]
	v_fma_f64 v[8:9], v[20:21], s[14:15], v[146:147]
	ds_store_2addr_b64 v177, v[6:7], v[2:3] offset0:156 offset1:182
	v_fma_f64 v[2:3], v[12:13], s[14:15], v[16:17]
	v_fma_f64 v[6:7], v[20:21], s[2:3], v[212:213]
	v_add_f64_e32 v[0:1], v[8:9], v[0:1]
	v_fma_f64 v[8:9], v[24:25], s[20:21], v[160:161]
	s_delay_alu instid0(VALU_DEP_4) | instskip(NEXT) | instid1(VALU_DEP_2)
	v_add_f64_e32 v[2:3], v[92:93], v[2:3]
	v_add_f64_e32 v[0:1], v[8:9], v[0:1]
	v_fma_f64 v[8:9], v[28:29], s[12:13], v[167:168]
	s_delay_alu instid0(VALU_DEP_3) | instskip(SKIP_1) | instid1(VALU_DEP_1)
	v_add_f64_e32 v[2:3], v[4:5], v[2:3]
	v_fma_f64 v[4:5], v[12:13], s[16:17], v[208:209]
	v_add_f64_e32 v[4:5], v[92:93], v[4:5]
	s_delay_alu instid0(VALU_DEP_1) | instskip(SKIP_1) | instid1(VALU_DEP_1)
	v_add_f64_e32 v[4:5], v[6:7], v[4:5]
	v_fma_f64 v[6:7], v[24:25], s[12:13], v[214:215]
	v_add_f64_e32 v[2:3], v[6:7], v[2:3]
	v_fma_f64 v[6:7], v[24:25], s[6:7], v[216:217]
	s_delay_alu instid0(VALU_DEP_1) | instskip(SKIP_1) | instid1(VALU_DEP_1)
	v_add_f64_e32 v[4:5], v[6:7], v[4:5]
	v_fma_f64 v[6:7], v[28:29], s[2:3], v[218:219]
	v_add_f64_e32 v[2:3], v[6:7], v[2:3]
	v_fma_f64 v[6:7], v[28:29], s[20:21], v[220:221]
	s_delay_alu instid0(VALU_DEP_1) | instskip(SKIP_1) | instid1(VALU_DEP_1)
	v_add_f64_e32 v[4:5], v[6:7], v[4:5]
	v_fma_f64 v[6:7], v[32:33], s[20:21], v[222:223]
	v_add_f64_e32 v[2:3], v[6:7], v[2:3]
	v_fma_f64 v[6:7], v[32:33], s[12:13], v[224:225]
	s_delay_alu instid0(VALU_DEP_1) | instskip(SKIP_1) | instid1(VALU_DEP_1)
	v_add_f64_e32 v[4:5], v[6:7], v[4:5]
	v_fma_f64 v[6:7], v[40:41], s[6:7], v[226:227]
	v_add_f64_e32 v[2:3], v[6:7], v[2:3]
	v_fma_f64 v[6:7], v[40:41], s[14:15], v[228:229]
	s_delay_alu instid0(VALU_DEP_1)
	v_add_f64_e32 v[4:5], v[6:7], v[4:5]
	v_fma_f64 v[6:7], v[20:21], s[6:7], v[22:23]
	ds_store_2addr_b64 v177, v[4:5], v[2:3] offset0:208 offset1:234
	v_fma_f64 v[2:3], v[12:13], s[2:3], v[148:149]
	v_fma_f64 v[4:5], v[12:13], s[12:13], v[14:15]
	;; [unrolled: 1-line block ×3, first 2 shown]
	s_delay_alu instid0(VALU_DEP_3) | instskip(NEXT) | instid1(VALU_DEP_3)
	v_add_f64_e32 v[2:3], v[92:93], v[2:3]
	v_add_f64_e32 v[4:5], v[92:93], v[4:5]
	s_delay_alu instid0(VALU_DEP_2) | instskip(SKIP_1) | instid1(VALU_DEP_3)
	v_add_f64_e32 v[2:3], v[10:11], v[2:3]
	v_fma_f64 v[10:11], v[24:25], s[14:15], v[162:163]
	v_add_f64_e32 v[4:5], v[6:7], v[4:5]
	v_fma_f64 v[6:7], v[28:29], s[16:17], v[164:165]
	s_delay_alu instid0(VALU_DEP_3) | instskip(SKIP_1) | instid1(VALU_DEP_4)
	v_add_f64_e32 v[2:3], v[10:11], v[2:3]
	v_fma_f64 v[10:11], v[28:29], s[14:15], v[30:31]
	v_add_f64_e32 v[4:5], v[12:13], v[4:5]
	s_delay_alu instid0(VALU_DEP_4)
	v_add_f64_e32 v[0:1], v[6:7], v[0:1]
	v_fma_f64 v[6:7], v[32:33], s[2:3], v[178:179]
	v_fma_f64 v[12:13], v[32:33], s[16:17], v[34:35]
	v_add_nc_u32_e32 v178, 0x800, v177
	v_sub_nc_u32_e32 v179, 0, v152
	v_add_f64_e32 v[2:3], v[8:9], v[2:3]
	v_fma_f64 v[8:9], v[32:33], s[6:7], v[181:182]
	v_add_f64_e32 v[4:5], v[10:11], v[4:5]
	v_fma_f64 v[10:11], v[40:41], s[20:21], v[42:43]
	;; [unrolled: 2-line block ×3, first 2 shown]
	v_lshl_add_u32 v181, v199, 3, 0
	v_lshl_add_u32 v184, v174, 3, 0
	v_add_f64_e32 v[2:3], v[8:9], v[2:3]
	v_fma_f64 v[8:9], v[40:41], s[16:17], v[185:186]
	v_add_f64_e32 v[4:5], v[12:13], v[4:5]
	v_add_f64_e32 v[146:147], v[6:7], v[0:1]
	s_delay_alu instid0(VALU_DEP_3) | instskip(NEXT) | instid1(VALU_DEP_3)
	v_add_f64_e32 v[0:1], v[8:9], v[2:3]
	v_add_f64_e32 v[148:149], v[10:11], v[4:5]
	ds_store_2addr_b64 v178, v[0:1], v[146:147] offset0:4 offset1:30
	v_sub_nc_u32_e32 v0, 0, v155
	ds_store_b64 v177, v[148:149] offset:2496
	global_wb scope:SCOPE_SE
	s_wait_dscnt 0x0
	s_barrier_signal -1
	s_barrier_wait -1
	v_add_nc_u32_e32 v206, v150, v0
	global_inv scope:SCOPE_SE
	ds_load_b64 v[158:159], v153
	ds_load_b64 v[154:155], v154
	;; [unrolled: 1-line block ×6, first 2 shown]
                                        ; implicit-def: $vgpr0_vgpr1
                                        ; kill: killed $vgpr0_vgpr1
                                        ; implicit-def: $vgpr0_vgpr1
                                        ; kill: killed $vgpr0_vgpr1
	ds_load_2addr_b64 v[28:31], v204 offset0:82 offset1:134
	ds_load_2addr_b64 v[32:35], v203 offset0:164 offset1:216
	;; [unrolled: 1-line block ×9, first 2 shown]
	s_and_saveexec_b32 s1, s0
	s_cbranch_execz .LBB0_15
; %bb.14:
	ds_load_b64 v[148:149], v175 offset:5200
	ds_load_b64 v[40:41], v175 offset:7904
	s_wait_dscnt 0x0
	scratch_store_b64 off, v[40:41], off    ; 8-byte Folded Spill
	ds_load_b64 v[146:147], v206
	ds_load_b64 v[40:41], v175 offset:10608
	s_wait_dscnt 0x0
	scratch_store_b64 off, v[40:41], off offset:8 ; 8-byte Folded Spill
.LBB0_15:
	s_wait_alu 0xfffe
	s_or_b32 exec_lo, exec_lo, s1
	v_add_f64_e64 v[128:129], v[140:141], -v[128:129]
	v_add_f64_e64 v[40:41], v[138:139], -v[124:125]
	;; [unrolled: 1-line block ×3, first 2 shown]
	v_add_f64_e32 v[122:123], v[126:127], v[96:97]
	v_add_f64_e64 v[92:93], v[134:135], -v[118:119]
	v_add_f64_e64 v[116:117], v[132:133], -v[116:117]
	v_add_f64_e64 v[114:115], v[130:131], -v[114:115]
	global_wb scope:SCOPE_SE
	s_wait_storecnt_dscnt 0x0
	s_barrier_signal -1
	s_barrier_wait -1
	global_inv scope:SCOPE_SE
	v_add_f64_e32 v[126:127], v[36:37], v[126:127]
	v_add_f64_e64 v[64:65], v[64:65], -v[90:91]
	v_add_f64_e32 v[90:91], v[38:39], v[98:99]
	v_add_f64_e32 v[38:39], v[106:107], v[38:39]
	v_add_f64_e64 v[66:67], v[66:67], -v[84:85]
	v_add_f64_e64 v[68:69], v[68:69], -v[78:79]
	;; [unrolled: 1-line block ×4, first 2 shown]
	v_mul_f64_e32 v[124:125], s[26:27], v[128:129]
	v_mul_f64_e32 v[132:133], s[18:19], v[40:41]
	;; [unrolled: 1-line block ×9, first 2 shown]
	v_add_f64_e32 v[38:39], v[38:39], v[58:59]
	v_add_f64_e32 v[58:59], v[58:59], v[44:45]
	v_fma_f64 v[118:119], v[122:123], s[6:7], -v[124:125]
	v_fma_f64 v[124:125], v[122:123], s[6:7], v[124:125]
	s_delay_alu instid0(VALU_DEP_4) | instskip(SKIP_1) | instid1(VALU_DEP_4)
	v_add_f64_e32 v[38:39], v[38:39], v[54:55]
	v_add_f64_e32 v[54:55], v[54:55], v[48:49]
	;; [unrolled: 1-line block ×7, first 2 shown]
	s_delay_alu instid0(VALU_DEP_4) | instskip(SKIP_1) | instid1(VALU_DEP_4)
	v_fma_f64 v[134:135], v[118:119], s[14:15], -v[132:133]
	v_fma_f64 v[140:141], v[118:119], s[20:21], -v[138:139]
	v_add_f64_e32 v[38:39], v[38:39], v[50:51]
	v_add_f64_e32 v[50:51], v[50:51], v[56:57]
	s_delay_alu instid0(VALU_DEP_4) | instskip(SKIP_4) | instid1(VALU_DEP_4)
	v_add_f64_e32 v[134:135], v[134:135], v[130:131]
	v_fma_f64 v[130:131], v[122:123], s[2:3], -v[136:137]
	v_fma_f64 v[136:137], v[122:123], s[2:3], v[136:137]
	v_add_f64_e32 v[38:39], v[38:39], v[60:61]
	v_add_f64_e32 v[60:61], v[60:61], v[62:63]
	;; [unrolled: 1-line block ×3, first 2 shown]
	s_delay_alu instid0(VALU_DEP_4) | instskip(NEXT) | instid1(VALU_DEP_4)
	v_add_f64_e32 v[136:137], v[36:37], v[136:137]
	v_add_f64_e32 v[38:39], v[38:39], v[62:63]
	v_mul_f64_e32 v[62:63], s[24:25], v[66:67]
	s_delay_alu instid0(VALU_DEP_4) | instskip(SKIP_1) | instid1(VALU_DEP_4)
	v_add_f64_e32 v[140:141], v[140:141], v[130:131]
	v_add_f64_e32 v[130:131], v[108:109], v[88:89]
	v_add_f64_e32 v[38:39], v[38:39], v[56:57]
	v_mul_f64_e32 v[56:57], s[18:19], v[68:69]
	s_delay_alu instid0(VALU_DEP_3) | instskip(NEXT) | instid1(VALU_DEP_3)
	v_fma_f64 v[182:183], v[130:131], s[20:21], -v[167:168]
	v_add_f64_e32 v[38:39], v[38:39], v[52:53]
	v_mul_f64_e32 v[52:53], s[22:23], v[70:71]
	s_delay_alu instid0(VALU_DEP_3) | instskip(SKIP_1) | instid1(VALU_DEP_4)
	v_add_f64_e32 v[182:183], v[182:183], v[134:135]
	v_fma_f64 v[134:135], v[130:131], s[14:15], -v[185:186]
	v_add_f64_e32 v[38:39], v[38:39], v[48:49]
	v_mul_f64_e32 v[48:49], s[24:25], v[72:73]
	s_delay_alu instid0(VALU_DEP_3) | instskip(SKIP_1) | instid1(VALU_DEP_4)
	v_add_f64_e32 v[140:141], v[134:135], v[140:141]
	v_add_f64_e32 v[134:135], v[104:105], v[86:87]
	;; [unrolled: 1-line block ×3, first 2 shown]
	s_delay_alu instid0(VALU_DEP_2) | instskip(NEXT) | instid1(VALU_DEP_2)
	v_fma_f64 v[209:210], v[134:135], s[16:17], -v[207:208]
	v_add_f64_e32 v[38:39], v[38:39], v[98:99]
	s_delay_alu instid0(VALU_DEP_2) | instskip(SKIP_1) | instid1(VALU_DEP_1)
	v_add_f64_e32 v[182:183], v[209:210], v[182:183]
	v_mul_f64_e32 v[209:210], s[30:31], v[92:93]
	v_fma_f64 v[211:212], v[134:135], s[12:13], -v[209:210]
	s_delay_alu instid0(VALU_DEP_1) | instskip(SKIP_1) | instid1(VALU_DEP_1)
	v_add_f64_e32 v[140:141], v[211:212], v[140:141]
	v_add_f64_e32 v[211:212], v[112:113], v[82:83]
	v_fma_f64 v[215:216], v[211:212], s[2:3], -v[213:214]
	s_delay_alu instid0(VALU_DEP_1) | instskip(SKIP_1) | instid1(VALU_DEP_1)
	v_add_f64_e32 v[182:183], v[215:216], v[182:183]
	v_mul_f64_e32 v[215:216], s[26:27], v[116:117]
	v_fma_f64 v[217:218], v[211:212], s[6:7], -v[215:216]
	s_delay_alu instid0(VALU_DEP_1) | instskip(SKIP_1) | instid1(VALU_DEP_1)
	v_add_f64_e32 v[140:141], v[217:218], v[140:141]
	v_add_f64_e32 v[217:218], v[120:121], v[80:81]
	v_fma_f64 v[221:222], v[217:218], s[12:13], -v[219:220]
	s_delay_alu instid0(VALU_DEP_1) | instskip(SKIP_1) | instid1(VALU_DEP_1)
	v_add_f64_e32 v[182:183], v[221:222], v[182:183]
	v_mul_f64_e32 v[221:222], s[22:23], v[114:115]
	v_fma_f64 v[223:224], v[217:218], s[16:17], -v[221:222]
	s_delay_alu instid0(VALU_DEP_1)
	v_add_f64_e32 v[140:141], v[223:224], v[140:141]
	v_mul_f64_e32 v[223:224], s[22:23], v[128:129]
	ds_store_2addr_b64 v166, v[140:141], v[182:183] offset0:4 offset1:30
	v_mul_f64_e32 v[140:141], s[42:43], v[128:129]
	v_mul_f64_e32 v[182:183], s[18:19], v[128:129]
	;; [unrolled: 1-line block ×3, first 2 shown]
	v_fma_f64 v[229:230], v[122:123], s[16:17], v[223:224]
	v_fma_f64 v[223:224], v[122:123], s[16:17], -v[223:224]
	v_fma_f64 v[225:226], v[122:123], s[12:13], v[140:141]
	v_fma_f64 v[140:141], v[122:123], s[12:13], -v[140:141]
	;; [unrolled: 2-line block ×4, first 2 shown]
	v_add_f64_e32 v[223:224], v[36:37], v[223:224]
	v_add_f64_e32 v[128:129], v[36:37], v[225:226]
	;; [unrolled: 1-line block ×8, first 2 shown]
	v_fma_f64 v[122:123], v[118:119], s[14:15], v[132:133]
	v_fma_f64 v[132:133], v[130:131], s[20:21], v[167:168]
	s_delay_alu instid0(VALU_DEP_2) | instskip(SKIP_2) | instid1(VALU_DEP_3)
	v_add_f64_e32 v[122:123], v[122:123], v[124:125]
	v_fma_f64 v[124:125], v[118:119], s[20:21], v[138:139]
	v_mul_f64_e32 v[138:139], s[30:31], v[42:43]
	v_add_f64_e32 v[122:123], v[132:133], v[122:123]
	s_delay_alu instid0(VALU_DEP_3) | instskip(SKIP_1) | instid1(VALU_DEP_4)
	v_add_f64_e32 v[124:125], v[124:125], v[136:137]
	v_fma_f64 v[132:133], v[130:131], s[14:15], v[185:186]
	v_fma_f64 v[166:167], v[130:131], s[12:13], v[138:139]
	s_delay_alu instid0(VALU_DEP_2) | instskip(SKIP_1) | instid1(VALU_DEP_1)
	v_add_f64_e32 v[124:125], v[132:133], v[124:125]
	v_fma_f64 v[132:133], v[134:135], s[16:17], v[207:208]
	v_add_f64_e32 v[122:123], v[132:133], v[122:123]
	v_fma_f64 v[132:133], v[134:135], s[12:13], v[209:210]
	s_delay_alu instid0(VALU_DEP_1) | instskip(SKIP_1) | instid1(VALU_DEP_1)
	v_add_f64_e32 v[124:125], v[132:133], v[124:125]
	v_fma_f64 v[132:133], v[211:212], s[2:3], v[213:214]
	v_add_f64_e32 v[122:123], v[132:133], v[122:123]
	v_fma_f64 v[132:133], v[211:212], s[6:7], v[215:216]
	s_delay_alu instid0(VALU_DEP_1) | instskip(SKIP_1) | instid1(VALU_DEP_1)
	v_add_f64_e32 v[124:125], v[132:133], v[124:125]
	v_fma_f64 v[132:133], v[217:218], s[12:13], v[219:220]
	v_add_f64_e32 v[122:123], v[132:133], v[122:123]
	v_fma_f64 v[132:133], v[217:218], s[16:17], v[221:222]
	s_delay_alu instid0(VALU_DEP_1) | instskip(SKIP_4) | instid1(VALU_DEP_2)
	v_add_f64_e32 v[124:125], v[132:133], v[124:125]
	v_mul_f64_e32 v[132:133], s[34:35], v[40:41]
	ds_store_2addr_b64 v172, v[122:123], v[124:125] offset0:52 offset1:78
	v_mul_f64_e32 v[122:123], s[36:37], v[40:41]
	v_fma_f64 v[136:137], v[118:119], s[2:3], v[132:133]
	v_fma_f64 v[124:125], v[118:119], s[16:17], v[122:123]
	s_delay_alu instid0(VALU_DEP_2) | instskip(NEXT) | instid1(VALU_DEP_2)
	v_add_f64_e32 v[136:137], v[136:137], v[227:228]
	v_add_f64_e32 v[124:125], v[124:125], v[225:226]
	s_delay_alu instid0(VALU_DEP_1) | instskip(SKIP_1) | instid1(VALU_DEP_1)
	v_add_f64_e32 v[124:125], v[166:167], v[124:125]
	v_mul_f64_e32 v[166:167], s[26:27], v[42:43]
	v_fma_f64 v[168:169], v[130:131], s[6:7], v[166:167]
	s_delay_alu instid0(VALU_DEP_1) | instskip(SKIP_1) | instid1(VALU_DEP_1)
	v_add_f64_e32 v[136:137], v[168:169], v[136:137]
	v_mul_f64_e32 v[168:169], s[28:29], v[92:93]
	v_fma_f64 v[185:186], v[134:135], s[2:3], v[168:169]
	;; [unrolled: 4-line block ×7, first 2 shown]
	s_delay_alu instid0(VALU_DEP_1) | instskip(SKIP_3) | instid1(VALU_DEP_2)
	v_add_f64_e32 v[136:137], v[219:220], v[136:137]
	ds_store_2addr_b64 v172, v[124:125], v[136:137] offset0:104 offset1:130
	v_mul_f64_e32 v[124:125], s[30:31], v[40:41]
	v_mul_f64_e32 v[40:41], s[26:27], v[40:41]
	v_fma_f64 v[136:137], v[118:119], s[12:13], v[124:125]
	v_fma_f64 v[124:125], v[118:119], s[12:13], -v[124:125]
	s_delay_alu instid0(VALU_DEP_2) | instskip(NEXT) | instid1(VALU_DEP_2)
	v_add_f64_e32 v[136:137], v[136:137], v[229:230]
	v_add_f64_e32 v[36:37], v[124:125], v[36:37]
	v_mul_f64_e32 v[124:125], s[22:23], v[42:43]
	v_mul_f64_e32 v[42:43], s[28:29], v[42:43]
	s_delay_alu instid0(VALU_DEP_2) | instskip(SKIP_1) | instid1(VALU_DEP_2)
	v_fma_f64 v[219:220], v[130:131], s[16:17], v[124:125]
	v_fma_f64 v[124:125], v[130:131], s[16:17], -v[124:125]
	v_add_f64_e32 v[136:137], v[219:220], v[136:137]
	s_delay_alu instid0(VALU_DEP_2) | instskip(SKIP_1) | instid1(VALU_DEP_1)
	v_add_f64_e32 v[36:37], v[124:125], v[36:37]
	v_mul_f64_e32 v[124:125], s[38:39], v[92:93]
	v_fma_f64 v[219:220], v[134:135], s[6:7], v[124:125]
	v_fma_f64 v[124:125], v[134:135], s[6:7], -v[124:125]
	s_delay_alu instid0(VALU_DEP_2) | instskip(NEXT) | instid1(VALU_DEP_2)
	v_add_f64_e32 v[136:137], v[219:220], v[136:137]
	v_add_f64_e32 v[36:37], v[124:125], v[36:37]
	v_mul_f64_e32 v[124:125], s[18:19], v[116:117]
	s_delay_alu instid0(VALU_DEP_1) | instskip(SKIP_1) | instid1(VALU_DEP_2)
	v_fma_f64 v[219:220], v[211:212], s[14:15], v[124:125]
	v_fma_f64 v[124:125], v[211:212], s[14:15], -v[124:125]
	v_add_f64_e32 v[136:137], v[219:220], v[136:137]
	s_delay_alu instid0(VALU_DEP_2) | instskip(SKIP_1) | instid1(VALU_DEP_1)
	v_add_f64_e32 v[36:37], v[124:125], v[36:37]
	v_mul_f64_e32 v[124:125], s[34:35], v[114:115]
	v_fma_f64 v[219:220], v[217:218], s[2:3], v[124:125]
	v_fma_f64 v[124:125], v[217:218], s[2:3], -v[124:125]
	s_delay_alu instid0(VALU_DEP_2) | instskip(NEXT) | instid1(VALU_DEP_2)
	v_add_f64_e32 v[136:137], v[219:220], v[136:137]
	v_add_f64_e32 v[36:37], v[124:125], v[36:37]
	v_fma_f64 v[124:125], v[130:131], s[12:13], -v[138:139]
	ds_store_2addr_b64 v172, v[136:137], v[36:37] offset0:156 offset1:182
	v_fma_f64 v[36:37], v[118:119], s[16:17], -v[122:123]
	v_fma_f64 v[122:123], v[118:119], s[2:3], -v[132:133]
	v_fma_f64 v[132:133], v[54:55], s[20:21], v[62:63]
	v_fma_f64 v[62:63], v[54:55], s[20:21], -v[62:63]
	s_delay_alu instid0(VALU_DEP_4) | instskip(NEXT) | instid1(VALU_DEP_4)
	v_add_f64_e32 v[36:37], v[36:37], v[182:183]
	v_add_f64_e32 v[122:123], v[122:123], v[223:224]
	s_delay_alu instid0(VALU_DEP_2) | instskip(SKIP_1) | instid1(VALU_DEP_1)
	v_add_f64_e32 v[36:37], v[124:125], v[36:37]
	v_fma_f64 v[124:125], v[130:131], s[6:7], -v[166:167]
	v_add_f64_e32 v[122:123], v[124:125], v[122:123]
	v_fma_f64 v[124:125], v[134:135], s[2:3], -v[168:169]
	s_delay_alu instid0(VALU_DEP_1) | instskip(SKIP_1) | instid1(VALU_DEP_1)
	v_add_f64_e32 v[36:37], v[124:125], v[36:37]
	v_fma_f64 v[124:125], v[134:135], s[20:21], -v[185:186]
	v_add_f64_e32 v[122:123], v[124:125], v[122:123]
	v_fma_f64 v[124:125], v[211:212], s[20:21], -v[207:208]
	s_delay_alu instid0(VALU_DEP_1) | instskip(SKIP_1) | instid1(VALU_DEP_1)
	;; [unrolled: 5-line block ×3, first 2 shown]
	v_add_f64_e32 v[36:37], v[124:125], v[36:37]
	v_fma_f64 v[124:125], v[217:218], s[14:15], -v[215:216]
	v_add_f64_e32 v[122:123], v[124:125], v[122:123]
	ds_store_2addr_b64 v172, v[122:123], v[36:37] offset0:208 offset1:234
	v_add_f64_e32 v[36:37], v[126:127], v[110:111]
	v_mul_f64_e32 v[110:111], s[24:25], v[64:65]
	s_delay_alu instid0(VALU_DEP_2) | instskip(SKIP_1) | instid1(VALU_DEP_2)
	v_add_f64_e32 v[36:37], v[36:37], v[108:109]
	v_mul_f64_e32 v[108:109], s[18:19], v[64:65]
	v_add_f64_e32 v[36:37], v[36:37], v[104:105]
	s_delay_alu instid0(VALU_DEP_1) | instskip(SKIP_1) | instid1(VALU_DEP_2)
	v_add_f64_e32 v[36:37], v[36:37], v[112:113]
	v_mul_f64_e32 v[112:113], s[36:37], v[64:65]
	v_add_f64_e32 v[36:37], v[36:37], v[120:121]
	v_fma_f64 v[120:121], v[58:59], s[20:21], v[110:111]
	v_fma_f64 v[110:111], v[58:59], s[20:21], -v[110:111]
	s_delay_alu instid0(VALU_DEP_4)
	v_fma_f64 v[122:123], v[58:59], s[16:17], v[112:113]
	v_fma_f64 v[112:113], v[58:59], s[16:17], -v[112:113]
	v_add_f64_e32 v[36:37], v[36:37], v[80:81]
	v_fma_f64 v[80:81], v[118:119], s[6:7], v[40:41]
	v_fma_f64 v[40:41], v[118:119], s[6:7], -v[40:41]
	v_fma_f64 v[118:119], v[58:59], s[14:15], v[108:109]
	v_fma_f64 v[108:109], v[58:59], s[14:15], -v[108:109]
	v_add_f64_e32 v[36:37], v[36:37], v[82:83]
	v_add_f64_e32 v[80:81], v[80:81], v[128:129]
	v_fma_f64 v[82:83], v[130:131], s[2:3], v[42:43]
	v_fma_f64 v[42:43], v[130:131], s[2:3], -v[42:43]
	v_mul_f64_e32 v[128:129], s[44:45], v[66:67]
	v_mul_f64_e32 v[130:131], s[26:27], v[66:67]
	v_add_f64_e32 v[40:41], v[40:41], v[140:141]
	v_add_f64_e32 v[36:37], v[36:37], v[86:87]
	;; [unrolled: 1-line block ×3, first 2 shown]
	v_mul_f64_e32 v[82:83], s[18:19], v[92:93]
	v_fma_f64 v[138:139], v[54:55], s[14:15], v[128:129]
	v_fma_f64 v[128:129], v[54:55], s[14:15], -v[128:129]
	v_fma_f64 v[166:167], v[54:55], s[6:7], v[130:131]
	v_fma_f64 v[130:131], v[54:55], s[6:7], -v[130:131]
	v_add_f64_e32 v[40:41], v[42:43], v[40:41]
	v_add_f64_e32 v[36:37], v[36:37], v[88:89]
	v_fma_f64 v[86:87], v[134:135], s[14:15], v[82:83]
	v_fma_f64 v[74:75], v[134:135], s[14:15], -v[82:83]
	s_delay_alu instid0(VALU_DEP_3) | instskip(NEXT) | instid1(VALU_DEP_3)
	v_add_f64_e32 v[36:37], v[36:37], v[94:95]
	v_add_f64_e32 v[80:81], v[86:87], v[80:81]
	v_mul_f64_e32 v[86:87], s[22:23], v[116:117]
	s_delay_alu instid0(VALU_DEP_4) | instskip(NEXT) | instid1(VALU_DEP_4)
	v_add_f64_e32 v[40:41], v[74:75], v[40:41]
	v_add_f64_e32 v[36:37], v[36:37], v[96:97]
	s_delay_alu instid0(VALU_DEP_3) | instskip(SKIP_1) | instid1(VALU_DEP_2)
	v_fma_f64 v[88:89], v[211:212], s[16:17], v[86:87]
	v_fma_f64 v[76:77], v[211:212], s[16:17], -v[86:87]
	v_add_f64_e32 v[80:81], v[88:89], v[80:81]
	v_mul_f64_e32 v[88:89], s[24:25], v[114:115]
	v_mul_f64_e32 v[114:115], s[34:35], v[64:65]
	s_delay_alu instid0(VALU_DEP_4) | instskip(NEXT) | instid1(VALU_DEP_3)
	v_add_f64_e32 v[40:41], v[76:77], v[40:41]
	v_fma_f64 v[92:93], v[217:218], s[20:21], v[88:89]
	v_fma_f64 v[78:79], v[217:218], s[20:21], -v[88:89]
	s_delay_alu instid0(VALU_DEP_4) | instskip(SKIP_1) | instid1(VALU_DEP_4)
	v_fma_f64 v[124:125], v[58:59], s[2:3], v[114:115]
	v_fma_f64 v[114:115], v[58:59], s[2:3], -v[114:115]
	v_add_f64_e32 v[80:81], v[92:93], v[80:81]
	s_delay_alu instid0(VALU_DEP_4) | instskip(SKIP_2) | instid1(VALU_DEP_1)
	v_add_f64_e32 v[40:41], v[78:79], v[40:41]
	ds_store_2addr_b64 v172, v[36:37], v[80:81] offset1:26
	v_add_f64_e64 v[36:37], v[102:103], -v[100:101]
	v_mul_f64_e32 v[80:81], s[42:43], v[36:37]
	v_mul_f64_e32 v[82:83], s[26:27], v[36:37]
	;; [unrolled: 1-line block ×6, first 2 shown]
	v_fma_f64 v[92:93], v[90:91], s[12:13], v[80:81]
	v_fma_f64 v[80:81], v[90:91], s[12:13], -v[80:81]
	v_fma_f64 v[94:95], v[90:91], s[6:7], v[82:83]
	v_fma_f64 v[82:83], v[90:91], s[6:7], -v[82:83]
	;; [unrolled: 2-line block ×6, first 2 shown]
	v_mul_f64_e32 v[90:91], s[26:27], v[64:65]
	v_mul_f64_e32 v[64:65], s[30:31], v[64:65]
	v_add_f64_e32 v[80:81], v[106:107], v[80:81]
	v_add_f64_e32 v[82:83], v[106:107], v[82:83]
	v_add_f64_e32 v[84:85], v[106:107], v[84:85]
	v_add_f64_e32 v[86:87], v[106:107], v[86:87]
	v_add_f64_e32 v[88:89], v[106:107], v[88:89]
	v_add_f64_e32 v[36:37], v[106:107], v[36:37]
	v_fma_f64 v[116:117], v[58:59], s[6:7], v[90:91]
	v_fma_f64 v[90:91], v[58:59], s[6:7], -v[90:91]
	v_fma_f64 v[126:127], v[58:59], s[12:13], v[64:65]
	v_fma_f64 v[58:59], v[58:59], s[12:13], -v[64:65]
	v_add_f64_e32 v[64:65], v[106:107], v[92:93]
	v_add_f64_e32 v[92:93], v[106:107], v[94:95]
	;; [unrolled: 1-line block ×6, first 2 shown]
	v_mul_f64_e32 v[106:107], s[28:29], v[66:67]
	v_mul_f64_e32 v[104:105], s[30:31], v[66:67]
	;; [unrolled: 1-line block ×3, first 2 shown]
	v_add_f64_e32 v[82:83], v[108:109], v[82:83]
	v_mul_f64_e32 v[108:109], s[40:41], v[68:69]
	v_add_f64_e32 v[84:85], v[110:111], v[84:85]
	v_fma_f64 v[110:111], v[46:47], s[14:15], v[56:57]
	v_add_f64_e32 v[86:87], v[112:113], v[86:87]
	v_fma_f64 v[56:57], v[46:47], s[14:15], -v[56:57]
	v_add_f64_e32 v[88:89], v[114:115], v[88:89]
	v_add_f64_e32 v[36:37], v[58:59], v[36:37]
	;; [unrolled: 1-line block ×3, first 2 shown]
	v_mul_f64_e32 v[58:59], s[36:37], v[68:69]
	v_fma_f64 v[136:137], v[54:55], s[2:3], v[106:107]
	v_fma_f64 v[134:135], v[54:55], s[12:13], v[104:105]
	v_fma_f64 v[104:105], v[54:55], s[12:13], -v[104:105]
	v_fma_f64 v[106:107], v[54:55], s[2:3], -v[106:107]
	v_fma_f64 v[168:169], v[54:55], s[16:17], v[66:67]
	v_fma_f64 v[54:55], v[54:55], s[16:17], -v[66:67]
	v_add_f64_e32 v[66:67], v[90:91], v[80:81]
	v_add_f64_e32 v[80:81], v[118:119], v[92:93]
	;; [unrolled: 1-line block ×6, first 2 shown]
	v_mul_f64_e32 v[100:101], s[30:31], v[68:69]
	v_mul_f64_e32 v[102:103], s[28:29], v[68:69]
	;; [unrolled: 1-line block ×3, first 2 shown]
	v_add_f64_e32 v[62:63], v[62:63], v[82:83]
	v_fma_f64 v[118:119], v[46:47], s[20:21], v[108:109]
	v_fma_f64 v[108:109], v[46:47], s[20:21], -v[108:109]
	v_add_f64_e32 v[88:89], v[130:131], v[88:89]
	v_fma_f64 v[112:113], v[46:47], s[16:17], v[58:59]
	v_fma_f64 v[58:59], v[46:47], s[16:17], -v[58:59]
	v_add_f64_e32 v[42:43], v[136:137], v[64:65]
	v_add_f64_e32 v[82:83], v[104:105], v[86:87]
	v_fma_f64 v[104:105], v[50:51], s[16:17], v[52:53]
	v_fma_f64 v[52:53], v[50:51], s[16:17], -v[52:53]
	v_add_f64_e32 v[36:37], v[54:55], v[36:37]
	v_add_f64_e32 v[54:55], v[128:129], v[84:85]
	;; [unrolled: 1-line block ×6, first 2 shown]
	v_mul_f64_e32 v[84:85], s[34:35], v[70:71]
	v_fma_f64 v[114:115], v[46:47], s[12:13], v[100:101]
	v_fma_f64 v[100:101], v[46:47], s[12:13], -v[100:101]
	v_fma_f64 v[116:117], v[46:47], s[2:3], v[102:103]
	v_fma_f64 v[102:103], v[46:47], s[2:3], -v[102:103]
	;; [unrolled: 2-line block ×3, first 2 shown]
	v_add_f64_e32 v[68:69], v[138:139], v[90:91]
	v_add_f64_e32 v[90:91], v[168:169], v[96:97]
	v_mul_f64_e32 v[92:93], s[26:27], v[70:71]
	v_mul_f64_e32 v[94:95], s[40:41], v[70:71]
	;; [unrolled: 1-line block ×4, first 2 shown]
	v_add_f64_e32 v[58:59], v[58:59], v[62:63]
	v_add_f64_e32 v[42:43], v[110:111], v[42:43]
	;; [unrolled: 1-line block ×4, first 2 shown]
	v_mul_f64_e32 v[66:67], s[30:31], v[72:73]
	v_add_f64_e32 v[74:75], v[118:119], v[86:87]
	v_fma_f64 v[106:107], v[50:51], s[2:3], v[84:85]
	v_fma_f64 v[84:85], v[50:51], s[2:3], -v[84:85]
	v_mul_f64_e32 v[86:87], s[38:39], v[72:73]
	v_add_f64_e32 v[54:55], v[100:101], v[54:55]
	v_add_f64_e32 v[36:37], v[46:47], v[36:37]
	;; [unrolled: 1-line block ×4, first 2 shown]
	v_fma_f64 v[122:123], v[50:51], s[6:7], v[92:93]
	v_fma_f64 v[92:93], v[50:51], s[6:7], -v[92:93]
	v_fma_f64 v[124:125], v[50:51], s[20:21], v[94:95]
	v_fma_f64 v[94:95], v[50:51], s[20:21], -v[94:95]
	;; [unrolled: 2-line block ×4, first 2 shown]
	v_add_f64_e32 v[70:71], v[102:103], v[82:83]
	v_mul_f64_e32 v[82:83], s[22:23], v[72:73]
	v_add_f64_e32 v[46:47], v[108:109], v[88:89]
	v_mul_f64_e32 v[88:89], s[18:19], v[72:73]
	;; [unrolled: 2-line block ×3, first 2 shown]
	v_fma_f64 v[90:91], v[60:61], s[20:21], v[48:49]
	v_fma_f64 v[48:49], v[60:61], s[20:21], -v[48:49]
	v_add_f64_e32 v[42:43], v[104:105], v[42:43]
	v_add_f64_e32 v[52:53], v[52:53], v[56:57]
	v_fma_f64 v[100:101], v[60:61], s[12:13], v[66:67]
	v_fma_f64 v[66:67], v[60:61], s[12:13], -v[66:67]
	v_add_f64_e32 v[64:65], v[106:107], v[64:65]
	v_add_f64_e32 v[58:59], v[84:85], v[58:59]
	;; [unrolled: 4-line block ×3, first 2 shown]
	v_add_f64_e32 v[44:45], v[126:127], v[74:75]
	v_add_f64_e32 v[36:37], v[50:51], v[36:37]
	;; [unrolled: 1-line block ×3, first 2 shown]
	v_fma_f64 v[102:103], v[60:61], s[16:17], v[82:83]
	v_fma_f64 v[82:83], v[60:61], s[16:17], -v[82:83]
	v_fma_f64 v[110:111], v[60:61], s[14:15], v[88:89]
	v_fma_f64 v[88:89], v[60:61], s[14:15], -v[88:89]
	;; [unrolled: 2-line block ×3, first 2 shown]
	v_add_f64_e32 v[72:73], v[128:129], v[80:81]
	v_add_f64_e32 v[46:47], v[96:97], v[46:47]
	v_add_f64_e32 v[50:51], v[92:93], v[54:55]
	v_add_f64_e32 v[42:43], v[90:91], v[42:43]
	v_add_f64_e32 v[168:169], v[48:49], v[52:53]
	v_add_nc_u32_e32 v48, v170, v173
	v_add_nc_u32_e32 v49, v171, v179
	v_add_f64_e32 v[54:55], v[100:101], v[64:65]
	v_add_f64_e32 v[166:167], v[66:67], v[58:59]
                                        ; implicit-def: $vgpr170_vgpr171
	v_add_f64_e32 v[58:59], v[108:109], v[68:69]
	v_add_f64_e32 v[56:57], v[102:103], v[62:63]
	;; [unrolled: 1-line block ×8, first 2 shown]
	ds_store_b64 v172, v[40:41] offset:2496
                                        ; implicit-def: $vgpr172_vgpr173
	ds_store_2addr_b64 v177, v[38:39], v[42:43] offset1:26
	ds_store_2addr_b64 v177, v[54:55], v[56:57] offset0:52 offset1:78
	ds_store_2addr_b64 v177, v[58:59], v[44:45] offset0:104 offset1:130
	;; [unrolled: 1-line block ×5, first 2 shown]
	ds_store_b64 v177, v[168:169] offset:2496
	global_wb scope:SCOPE_SE
	s_wait_dscnt 0x0
	s_barrier_signal -1
	s_barrier_wait -1
	global_inv scope:SCOPE_SE
	ds_load_2addr_b64 v[56:59], v204 offset0:82 offset1:134
	ds_load_2addr_b64 v[68:71], v203 offset0:164 offset1:216
	;; [unrolled: 1-line block ×3, first 2 shown]
	ds_load_b64 v[178:179], v48
	ds_load_b64 v[176:177], v49
	;; [unrolled: 1-line block ×6, first 2 shown]
	ds_load_2addr_b64 v[44:47], v204 offset0:186 offset1:238
	ds_load_2addr_b64 v[36:39], v203 offset0:34 offset1:86
	;; [unrolled: 1-line block ×6, first 2 shown]
	s_and_saveexec_b32 s1, s0
	s_cbranch_execz .LBB0_17
; %bb.16:
	ds_load_b64 v[168:169], v175 offset:5200
	ds_load_b64 v[170:171], v175 offset:7904
	ds_load_b64 v[166:167], v206
	ds_load_b64 v[172:173], v175 offset:10608
	v_mov_b32_e32 v205, v142
.LBB0_17:
	s_wait_alu 0xfffe
	s_or_b32 exec_lo, exec_lo, s1
	s_and_saveexec_b32 s1, vcc_lo
	s_cbranch_execz .LBB0_20
; %bb.18:
	v_mul_i32_i24_e32 v174, 3, v174
	v_mul_u32_u24_e32 v76, 3, v188
	v_mov_b32_e32 v175, 0
	v_mad_co_u64_u32 v[202:203], null, s8, v193, 0
	v_mad_co_u64_u32 v[206:207], null, s8, v196, 0
	s_delay_alu instid0(VALU_DEP_4) | instskip(NEXT) | instid1(VALU_DEP_4)
	v_lshlrev_b32_e32 v78, 4, v76
	v_lshlrev_b64_e32 v[72:73], 4, v[174:175]
	v_mul_i32_i24_e32 v174, 3, v200
	v_mad_co_u64_u32 v[200:201], null, s8, v197, 0
	v_add_nc_u32_e32 v244, 0x42a, v188
	v_mad_co_u64_u32 v[208:209], null, s8, v191, 0
	s_delay_alu instid0(VALU_DEP_4) | instskip(SKIP_3) | instid1(VALU_DEP_3)
	v_lshlrev_b64_e32 v[74:75], 4, v[174:175]
	v_mul_i32_i24_e32 v174, 3, v199
	v_mad_co_u64_u32 v[210:211], null, s8, v195, 0
	v_mad_co_u64_u32 v[212:213], null, s8, v192, 0
	v_lshlrev_b64_e32 v[84:85], 4, v[174:175]
	v_mul_i32_i24_e32 v174, 3, v198
	v_mad_co_u64_u32 v[214:215], null, s8, v194, 0
	v_mul_hi_u32 v232, 0x60f25deb, v189
	v_mul_hi_u32 v233, 0x60f25deb, v190
	s_delay_alu instid0(VALU_DEP_4)
	v_lshlrev_b64_e32 v[86:87], 4, v[174:175]
	v_mul_i32_i24_e32 v174, 3, v143
	global_load_b128 v[140:143], v78, s[4:5] offset:5392
	v_add_nc_u32_e32 v242, 0x3f6, v188
	v_add_nc_u32_e32 v248, 0x492, v188
	v_dual_mov_b32 v204, v209 :: v_dual_add_nc_u32 v243, 0x186, v188
	v_lshlrev_b64_e32 v[76:77], 4, v[174:175]
	v_dual_mov_b32 v209, v213 :: v_dual_add_nc_u32 v246, 0x45e, v188
	v_lshrrev_b32_e32 v213, 7, v232
	s_delay_alu instid0(VALU_DEP_4) | instskip(NEXT) | instid1(VALU_DEP_4)
	v_mad_co_u64_u32 v[220:221], null, s8, v243, 0
	v_add_co_u32 v80, vcc_lo, s4, v76
	s_wait_alu 0xfffd
	v_add_co_ci_u32_e32 v81, vcc_lo, s5, v77, vcc_lo
	v_add_co_u32 v72, vcc_lo, s4, v72
	s_wait_alu 0xfffd
	v_add_co_ci_u32_e32 v73, vcc_lo, s5, v73, vcc_lo
	s_clause 0x4
	global_load_b128 v[136:139], v[80:81], off offset:5392
	global_load_b128 v[132:135], v78, s[4:5] offset:5376
	global_load_b128 v[128:131], v[80:81], off offset:5376
	global_load_b128 v[124:127], v78, s[4:5] offset:5408
	global_load_b128 v[120:123], v[72:73], off offset:5392
	v_add_co_u32 v198, vcc_lo, s4, v74
	s_wait_alu 0xfffd
	v_add_co_ci_u32_e32 v199, vcc_lo, s5, v75, vcc_lo
	s_clause 0x4
	global_load_b128 v[116:119], v[72:73], off offset:5376
	global_load_b128 v[76:79], v[198:199], off offset:5376
	;; [unrolled: 1-line block ×5, first 2 shown]
	v_add_co_u32 v84, vcc_lo, s4, v84
	s_wait_alu 0xfffd
	v_add_co_ci_u32_e32 v85, vcc_lo, s5, v85, vcc_lo
	v_add_co_u32 v86, vcc_lo, s4, v86
	s_wait_alu 0xfffd
	v_add_co_ci_u32_e32 v87, vcc_lo, s5, v87, vcc_lo
	s_clause 0x6
	global_load_b128 v[88:91], v[84:85], off offset:5392
	global_load_b128 v[100:103], v[84:85], off offset:5376
	;; [unrolled: 1-line block ×7, first 2 shown]
	v_mad_co_u64_u32 v[198:199], null, s8, v188, 0
	v_add_nc_u32_e32 v241, 0x152, v188
	v_mad_u32_u24 v249, 0x3f6, v213, v189
	v_add_co_u32 v144, vcc_lo, s10, v144
	s_wait_alu 0xfffd
	v_add_co_ci_u32_e32 v145, vcc_lo, s11, v145, vcc_lo
	v_mov_b32_e32 v174, v199
	v_mad_co_u64_u32 v[216:217], null, s8, v241, 0
	v_mov_b32_e32 v199, v201
	v_mov_b32_e32 v201, v203
	v_mad_co_u64_u32 v[222:223], null, s8, v244, 0
	v_add_nc_u32_e32 v245, 0x1ba, v188
	v_add_nc_u32_e32 v247, 0x1ee, v188
	v_mov_b32_e32 v203, v207
	v_mov_b32_e32 v207, v211
	v_mad_co_u64_u32 v[230:231], null, s8, v248, 0
	v_mov_b32_e32 v211, v215
	v_lshrrev_b32_e32 v215, 7, v233
	v_mad_co_u64_u32 v[232:233], null, s9, v188, v[174:175]
	v_mad_co_u64_u32 v[233:234], null, s9, v197, v[199:200]
	;; [unrolled: 1-line block ×3, first 2 shown]
	v_mov_b32_e32 v174, v217
	v_mad_co_u64_u32 v[224:225], null, s8, v245, 0
	v_mad_co_u64_u32 v[235:236], null, s9, v196, v[203:204]
	v_mov_b32_e32 v196, v223
	v_mad_co_u64_u32 v[228:229], null, s8, v247, 0
	v_mad_co_u64_u32 v[218:219], null, s8, v242, 0
	;; [unrolled: 1-line block ×6, first 2 shown]
	v_mov_b32_e32 v192, v229
	v_mad_u32_u24 v251, 0x3f6, v215, v190
	v_mov_b32_e32 v191, v225
	v_dual_mov_b32 v197, v219 :: v_dual_add_nc_u32 v254, 0x2a4, v249
	s_delay_alu instid0(VALU_DEP_3)
	v_dual_mov_b32 v193, v221 :: v_dual_add_nc_u32 v150, 0x152, v251
	v_mov_b32_e32 v195, v227
	v_mad_co_u64_u32 v[239:240], null, s9, v194, v[211:212]
	v_mov_b32_e32 v194, v231
	v_mad_co_u64_u32 v[189:190], null, s9, v241, v[174:175]
	v_add_nc_u32_e32 v152, 0x3f6, v251
	v_mad_co_u64_u32 v[190:191], null, s9, v245, v[191:192]
	v_mad_co_u64_u32 v[240:241], null, s9, v242, v[197:198]
	v_mad_co_u64_u32 v[191:192], null, s9, v247, v[192:193]
	v_mad_co_u64_u32 v[241:242], null, s9, v243, v[193:194]
	v_mad_co_u64_u32 v[192:193], null, s9, v248, v[194:195]
	v_mad_co_u64_u32 v[196:197], null, s9, v244, v[196:197]
	v_mad_co_u64_u32 v[193:194], null, s8, v249, 0
	v_mov_b32_e32 v209, v236
	v_mov_b32_e32 v219, v240
	;; [unrolled: 1-line block ×5, first 2 shown]
	v_dual_mov_b32 v207, v235 :: v_dual_mov_b32 v174, v194
	v_mad_co_u64_u32 v[242:243], null, s9, v246, v[195:196]
	v_lshlrev_b64_e32 v[195:196], 4, v[208:209]
	v_mad_co_u64_u32 v[234:235], null, s8, v254, 0
	v_mad_co_u64_u32 v[243:244], null, s8, v251, 0
	;; [unrolled: 1-line block ×3, first 2 shown]
	v_add_nc_u32_e32 v255, 0x3f6, v249
	s_delay_alu instid0(VALU_DEP_4)
	v_dual_mov_b32 v231, v192 :: v_dual_mov_b32 v192, v235
	v_mov_b32_e32 v229, v191
	v_mov_b32_e32 v191, v244
	;; [unrolled: 1-line block ×6, first 2 shown]
	v_mad_co_u64_u32 v[236:237], null, s8, v255, 0
	v_add_nc_u32_e32 v151, 0x2a4, v251
	v_mad_co_u64_u32 v[251:252], null, s9, v251, v[191:192]
	v_mov_b32_e32 v201, v233
	v_mov_b32_e32 v213, v238
	;; [unrolled: 1-line block ×3, first 2 shown]
	v_lshlrev_b64_e32 v[189:190], 4, v[210:211]
	v_lshlrev_b64_e32 v[210:211], 4, v[214:215]
	;; [unrolled: 1-line block ×3, first 2 shown]
	v_mov_b32_e32 v244, v251
	v_lshlrev_b64_e32 v[218:219], 4, v[222:223]
	v_lshlrev_b64_e32 v[222:223], 4, v[224:225]
	;; [unrolled: 1-line block ×5, first 2 shown]
	v_mad_co_u64_u32 v[230:231], null, s9, v249, v[174:175]
	v_mov_b32_e32 v199, v232
	v_add_nc_u32_e32 v253, 0x152, v249
	v_mad_co_u64_u32 v[238:239], null, s8, v150, 0
	v_mov_b32_e32 v194, v237
	s_delay_alu instid0(VALU_DEP_4)
	v_lshlrev_b64_e32 v[197:198], 4, v[198:199]
	v_lshlrev_b64_e32 v[199:200], 4, v[200:201]
	;; [unrolled: 1-line block ×3, first 2 shown]
	v_mad_co_u64_u32 v[232:233], null, s8, v253, 0
	v_mov_b32_e32 v191, v239
	v_add_co_u32 v197, vcc_lo, v144, v197
	s_wait_alu 0xfffd
	v_add_co_ci_u32_e32 v198, vcc_lo, v145, v198, vcc_lo
	v_add_co_u32 v199, vcc_lo, v144, v199
	v_mov_b32_e32 v174, v233
	s_wait_alu 0xfffd
	v_add_co_ci_u32_e32 v200, vcc_lo, v145, v200, vcc_lo
	v_add_co_u32 v201, vcc_lo, v144, v201
	s_wait_alu 0xfffd
	v_add_co_ci_u32_e32 v202, vcc_lo, v145, v202, vcc_lo
	v_mad_co_u64_u32 v[245:246], null, s8, v151, 0
	s_wait_loadcnt 0x11
	v_mul_f64_e32 v[208:209], v[32:33], v[142:143]
	s_wait_dscnt 0xd
	v_mul_f64_e32 v[142:143], v[68:69], v[142:143]
	s_wait_loadcnt 0xf
	v_mul_f64_e32 v[240:241], v[56:57], v[134:135]
	v_mul_f64_e32 v[134:135], v[28:29], v[134:135]
	s_wait_loadcnt 0xe
	v_mul_f64_e32 v[249:250], v[58:59], v[130:131]
	v_mul_f64_e32 v[130:131], v[30:31], v[130:131]
	v_fma_f64 v[68:69], v[68:69], v[140:141], v[208:209]
	v_fma_f64 v[32:33], v[32:33], v[140:141], -v[142:143]
	s_wait_loadcnt_dscnt 0xc02
	v_mul_f64_e32 v[140:141], v[66:67], v[120:121]
	v_mul_f64_e32 v[66:67], v[66:67], v[122:123]
	s_wait_loadcnt 0xa
	v_mul_f64_e32 v[142:143], v[36:37], v[78:79]
	v_mul_f64_e32 v[208:209], v[52:53], v[126:127]
	;; [unrolled: 1-line block ×3, first 2 shown]
	v_fma_f64 v[28:29], v[28:29], v[132:133], -v[240:241]
	v_fma_f64 v[56:57], v[56:57], v[132:133], v[134:135]
	s_wait_loadcnt 0x9
	v_mul_f64_e32 v[132:133], v[18:19], v[94:95]
	v_mul_f64_e32 v[94:95], v[54:55], v[94:95]
	v_fma_f64 v[58:59], v[58:59], v[128:129], v[130:131]
	s_wait_loadcnt 0x4
	v_mul_f64_e32 v[130:131], v[60:61], v[104:105]
	v_mul_f64_e32 v[60:61], v[60:61], v[106:107]
	s_wait_loadcnt 0x3
	v_mul_f64_e32 v[239:240], v[44:45], v[114:115]
	v_mul_f64_e32 v[114:115], v[20:21], v[114:115]
	v_fma_f64 v[30:31], v[30:31], v[128:129], -v[249:250]
	v_mul_f64_e32 v[128:129], v[46:47], v[102:103]
	v_mul_f64_e32 v[102:103], v[22:23], v[102:103]
	v_fma_f64 v[122:123], v[2:3], v[122:123], v[140:141]
	v_fma_f64 v[2:3], v[2:3], v[120:121], -v[66:67]
	v_mad_co_u64_u32 v[120:121], null, s9, v254, v[192:193]
	v_mov_b32_e32 v121, v248
	s_wait_loadcnt 0x2
	v_mul_f64_e32 v[66:67], v[8:9], v[110:111]
	s_wait_dscnt 0x1
	v_mul_f64_e32 v[110:111], v[48:49], v[110:111]
	v_fma_f64 v[16:17], v[16:17], v[124:125], -v[208:209]
	v_fma_f64 v[52:53], v[52:53], v[124:125], v[126:127]
	v_mov_b32_e32 v235, v120
	v_fma_f64 v[54:55], v[54:55], v[92:93], v[132:133]
	v_fma_f64 v[18:19], v[18:19], v[92:93], -v[94:95]
	v_fma_f64 v[106:107], v[12:13], v[106:107], v[130:131]
	v_fma_f64 v[12:13], v[12:13], v[104:105], -v[60:61]
	v_fma_f64 v[20:21], v[20:21], v[112:113], -v[239:240]
	v_fma_f64 v[44:45], v[44:45], v[112:113], v[114:115]
	v_add_f64_e64 v[60:61], v[186:187], -v[68:69]
	v_fma_f64 v[22:23], v[22:23], v[100:101], -v[128:129]
	v_fma_f64 v[46:47], v[46:47], v[100:101], v[102:103]
	v_mad_co_u64_u32 v[132:133], null, s9, v152, v[121:122]
	v_add_f64_e64 v[104:105], v[156:157], -v[2:3]
	v_fma_f64 v[48:49], v[48:49], v[108:109], v[66:67]
	v_fma_f64 v[8:9], v[8:9], v[108:109], -v[110:111]
	v_add_f64_e64 v[16:17], v[28:29], -v[16:17]
	v_mov_b32_e32 v248, v132
	v_lshlrev_b64_e32 v[203:204], 4, v[206:207]
	v_lshlrev_b64_e32 v[206:207], 4, v[212:213]
	v_lshlrev_b64_e32 v[212:213], 4, v[216:217]
	v_lshlrev_b64_e32 v[216:217], 4, v[220:221]
	v_mul_f64_e32 v[220:221], v[70:71], v[136:137]
	v_mul_f64_e32 v[70:71], v[70:71], v[138:139]
	v_add_co_u32 v203, vcc_lo, v144, v203
	s_wait_alu 0xfffd
	v_add_co_ci_u32_e32 v204, vcc_lo, v145, v204, vcc_lo
	v_add_f64_e64 v[18:19], v[30:31], -v[18:19]
	v_add_f64_e64 v[68:69], v[178:179], -v[106:107]
	v_add_f64_e32 v[2:3], v[60:61], v[16:17]
	v_fma_f64 v[138:139], v[34:35], v[138:139], v[220:221]
	v_fma_f64 v[34:35], v[34:35], v[136:137], -v[70:71]
	v_mul_f64_e32 v[70:71], v[38:39], v[118:119]
	v_mul_f64_e32 v[118:119], v[26:27], v[118:119]
	v_add_co_u32 v136, vcc_lo, v144, v195
	s_wait_alu 0xfffd
	v_add_co_ci_u32_e32 v137, vcc_lo, v145, v196, vcc_lo
	v_add_co_u32 v134, vcc_lo, v144, v189
	s_wait_alu 0xfffd
	v_add_co_ci_u32_e32 v135, vcc_lo, v145, v190, vcc_lo
	v_add_co_u32 v189, vcc_lo, v144, v206
	v_mul_f64_e32 v[220:221], v[62:63], v[88:89]
	v_mul_f64_e32 v[62:63], v[62:63], v[90:91]
	s_wait_alu 0xfffd
	v_add_co_ci_u32_e32 v190, vcc_lo, v145, v207, vcc_lo
	v_add_co_u32 v195, vcc_lo, v144, v210
	s_wait_alu 0xfffd
	v_add_co_ci_u32_e32 v196, vcc_lo, v145, v211, vcc_lo
	v_mul_f64_e32 v[210:211], v[64:65], v[80:81]
	v_mul_f64_e32 v[64:65], v[64:65], v[82:83]
	s_wait_dscnt 0x0
	v_mul_f64_e32 v[206:207], v[42:43], v[74:75]
	v_mul_f64_e32 v[74:75], v[6:7], v[74:75]
	v_fma_f64 v[30:31], v[30:31], 2.0, -v[18:19]
	v_mad_co_u64_u32 v[124:125], null, s9, v255, v[194:195]
	v_mad_co_u64_u32 v[125:126], null, s9, v150, v[191:192]
	v_add_co_u32 v140, vcc_lo, v144, v212
	s_wait_alu 0xfffd
	v_add_co_ci_u32_e32 v141, vcc_lo, v145, v213, vcc_lo
	s_delay_alu instid0(VALU_DEP_4) | instskip(NEXT) | instid1(VALU_DEP_4)
	v_dual_mov_b32 v194, v230 :: v_dual_mov_b32 v237, v124
	v_mov_b32_e32 v239, v125
	v_add_f64_e64 v[66:67], v[162:163], -v[34:35]
	v_fma_f64 v[26:27], v[26:27], v[116:117], -v[70:71]
	s_wait_loadcnt 0x1
	v_mul_f64_e32 v[70:71], v[10:11], v[98:99]
	v_mul_f64_e32 v[98:99], v[50:51], v[98:99]
	v_fma_f64 v[38:39], v[38:39], v[116:117], v[118:119]
	v_fma_f64 v[116:117], v[24:25], v[76:77], -v[142:143]
	v_mul_f64_e32 v[24:25], v[24:25], v[78:79]
	s_wait_loadcnt 0x0
	v_mul_f64_e32 v[78:79], v[4:5], v[86:87]
	v_mul_f64_e32 v[86:87], v[40:41], v[86:87]
	v_add_f64_e64 v[34:35], v[44:45], -v[48:49]
	v_add_f64_e64 v[48:49], v[20:21], -v[8:9]
	v_mad_co_u64_u32 v[118:119], null, s9, v253, v[174:175]
	v_fma_f64 v[90:91], v[14:15], v[90:91], v[220:221]
	v_fma_f64 v[14:15], v[14:15], v[88:89], -v[62:63]
	v_add_f64_e64 v[62:63], v[164:165], -v[32:33]
	v_add_f64_e64 v[32:33], v[56:57], -v[52:53]
	;; [unrolled: 1-line block ×3, first 2 shown]
	v_mov_b32_e32 v119, v246
	v_lshlrev_b64_e32 v[142:143], 4, v[193:194]
	v_mov_b32_e32 v233, v118
	v_fma_f64 v[82:83], v[0:1], v[82:83], v[210:211]
	v_fma_f64 v[0:1], v[0:1], v[80:81], -v[64:65]
	v_fma_f64 v[6:7], v[6:7], v[72:73], -v[206:207]
	v_add_f64_e64 v[64:65], v[182:183], -v[138:139]
	v_mad_co_u64_u32 v[126:127], null, s9, v151, v[119:120]
	v_fma_f64 v[127:128], v[156:157], 2.0, -v[104:105]
	v_lshlrev_b64_e32 v[118:119], 4, v[243:244]
	v_lshlrev_b64_e32 v[123:124], 4, v[232:233]
	;; [unrolled: 1-line block ×3, first 2 shown]
	v_mov_b32_e32 v246, v126
	v_lshlrev_b64_e32 v[125:126], 4, v[234:235]
	s_delay_alu instid0(VALU_DEP_2)
	v_lshlrev_b64_e32 v[156:157], 4, v[245:246]
	v_fma_f64 v[50:51], v[50:51], v[96:97], v[70:71]
	v_fma_f64 v[10:11], v[10:11], v[96:97], -v[98:99]
	v_fma_f64 v[70:71], v[186:187], 2.0, -v[60:61]
	v_add_co_u32 v96, vcc_lo, v144, v214
	v_fma_f64 v[24:25], v[36:37], v[76:77], v[24:25]
	v_fma_f64 v[36:37], v[40:41], v[84:85], v[78:79]
	v_fma_f64 v[4:5], v[4:5], v[84:85], -v[86:87]
	v_fma_f64 v[40:41], v[42:43], v[72:73], v[74:75]
	v_add_f64_e64 v[42:43], v[58:59], -v[54:55]
	v_add_f64_e64 v[72:73], v[158:159], -v[12:13]
	;; [unrolled: 1-line block ×4, first 2 shown]
	v_fma_f64 v[76:77], v[164:165], 2.0, -v[62:63]
	v_fma_f64 v[8:9], v[56:57], 2.0, -v[32:33]
	;; [unrolled: 1-line block ×6, first 2 shown]
	v_add_f64_e64 v[82:83], v[176:177], -v[82:83]
	v_add_f64_e64 v[90:91], v[154:155], -v[0:1]
	;; [unrolled: 1-line block ×3, first 2 shown]
	v_fma_f64 v[56:57], v[182:183], 2.0, -v[64:65]
	v_fma_f64 v[92:93], v[184:185], 2.0, -v[88:89]
	v_add_f64_e64 v[0:1], v[62:63], -v[32:33]
	v_add_f64_e32 v[14:15], v[64:65], v[18:19]
	s_wait_alu 0xfffd
	v_add_co_ci_u32_e32 v97, vcc_lo, v145, v215, vcc_lo
	v_add_co_u32 v98, vcc_lo, v144, v216
	s_wait_alu 0xfffd
	v_add_co_ci_u32_e32 v99, vcc_lo, v145, v217, vcc_lo
	v_add_co_u32 v100, vcc_lo, v144, v218
	;; [unrolled: 3-line block ×3, first 2 shown]
	v_add_f64_e64 v[50:51], v[46:47], -v[50:51]
	v_add_f64_e64 v[52:53], v[22:23], -v[10:11]
	s_wait_alu 0xfffd
	v_add_co_ci_u32_e32 v103, vcc_lo, v145, v223, vcc_lo
	v_add_co_u32 v106, vcc_lo, v144, v224
	v_add_f64_e64 v[36:37], v[24:25], -v[36:37]
	v_add_f64_e64 v[54:55], v[116:117], -v[4:5]
	v_add_f64_e64 v[4:5], v[38:39], -v[40:41]
	v_fma_f64 v[28:29], v[58:59], 2.0, -v[42:43]
	v_fma_f64 v[40:41], v[44:45], 2.0, -v[34:35]
	;; [unrolled: 1-line block ×5, first 2 shown]
	v_add_f64_e64 v[10:11], v[70:71], -v[8:9]
	v_add_f64_e64 v[8:9], v[76:77], -v[12:13]
	;; [unrolled: 1-line block ×4, first 2 shown]
	s_wait_alu 0xfffd
	v_add_co_ci_u32_e32 v107, vcc_lo, v145, v225, vcc_lo
	v_fma_f64 v[114:115], v[176:177], 2.0, -v[82:83]
	v_fma_f64 v[121:122], v[154:155], 2.0, -v[90:91]
	;; [unrolled: 1-line block ×3, first 2 shown]
	v_add_f64_e32 v[6:7], v[88:89], v[6:7]
	v_add_co_u32 v108, vcc_lo, v144, v226
	s_wait_alu 0xfffd
	v_add_co_ci_u32_e32 v109, vcc_lo, v145, v227, vcc_lo
	v_add_co_u32 v110, vcc_lo, v144, v228
	s_wait_alu 0xfffd
	v_add_co_ci_u32_e32 v111, vcc_lo, v145, v229, vcc_lo
	v_lshlrev_b64_e32 v[154:155], 4, v[238:239]
	v_lshlrev_b64_e32 v[158:159], 4, v[247:248]
	v_fma_f64 v[44:45], v[46:47], 2.0, -v[50:51]
	v_fma_f64 v[46:47], v[22:23], 2.0, -v[52:53]
	v_add_f64_e32 v[22:23], v[68:69], v[48:49]
	v_add_f64_e32 v[30:31], v[74:75], v[52:53]
	v_fma_f64 v[48:49], v[62:63], 2.0, -v[0:1]
	v_fma_f64 v[58:59], v[24:25], 2.0, -v[36:37]
	;; [unrolled: 1-line block ×4, first 2 shown]
	v_add_f64_e64 v[18:19], v[56:57], -v[28:29]
	v_add_f64_e64 v[26:27], v[84:85], -v[40:41]
	;; [unrolled: 1-line block ×5, first 2 shown]
	v_add_f64_e32 v[38:39], v[82:83], v[54:55]
	v_add_f64_e64 v[36:37], v[90:91], -v[36:37]
	v_add_f64_e64 v[4:5], v[104:105], -v[4:5]
	v_fma_f64 v[54:55], v[70:71], 2.0, -v[10:11]
	v_fma_f64 v[52:53], v[76:77], 2.0, -v[8:9]
	;; [unrolled: 1-line block ×4, first 2 shown]
	v_add_f64_e64 v[34:35], v[94:95], -v[44:45]
	v_add_f64_e64 v[32:33], v[112:113], -v[46:47]
	;; [unrolled: 1-line block ×3, first 2 shown]
	v_fma_f64 v[74:75], v[74:75], 2.0, -v[30:31]
	v_add_f64_e64 v[42:43], v[114:115], -v[58:59]
	v_add_f64_e64 v[40:41], v[121:122], -v[116:117]
	v_add_f64_e64 v[46:47], v[92:93], -v[129:130]
	v_fma_f64 v[62:63], v[56:57], 2.0, -v[18:19]
	v_fma_f64 v[58:59], v[64:65], 2.0, -v[14:15]
	;; [unrolled: 1-line block ×8, first 2 shown]
	v_add_co_u32 v116, vcc_lo, v144, v142
	s_wait_alu 0xfffd
	v_add_co_ci_u32_e32 v117, vcc_lo, v145, v143, vcc_lo
	v_fma_f64 v[82:83], v[82:83], 2.0, -v[38:39]
	v_fma_f64 v[80:81], v[90:91], 2.0, -v[36:37]
	v_add_co_u32 v118, vcc_lo, v144, v118
	s_wait_alu 0xfffd
	v_add_co_ci_u32_e32 v119, vcc_lo, v145, v119, vcc_lo
	v_add_co_u32 v123, vcc_lo, v144, v123
	v_fma_f64 v[90:91], v[88:89], 2.0, -v[6:7]
	v_fma_f64 v[88:89], v[104:105], 2.0, -v[4:5]
	s_wait_alu 0xfffd
	v_add_co_ci_u32_e32 v124, vcc_lo, v145, v124, vcc_lo
	v_add_co_u32 v125, vcc_lo, v144, v125
	s_wait_alu 0xfffd
	v_add_co_ci_u32_e32 v126, vcc_lo, v145, v126, vcc_lo
	v_add_co_u32 v104, vcc_lo, v144, v131
	v_fma_f64 v[78:79], v[94:95], 2.0, -v[34:35]
	v_fma_f64 v[76:77], v[112:113], 2.0, -v[32:33]
	s_wait_alu 0xfffd
	v_add_co_ci_u32_e32 v105, vcc_lo, v145, v132, vcc_lo
	v_add_co_u32 v112, vcc_lo, v144, v154
	v_fma_f64 v[86:87], v[114:115], 2.0, -v[42:43]
	v_fma_f64 v[84:85], v[121:122], 2.0, -v[40:41]
	;; [unrolled: 1-line block ×4, first 2 shown]
	s_wait_alu 0xfffd
	v_add_co_ci_u32_e32 v113, vcc_lo, v145, v155, vcc_lo
	v_add_co_u32 v114, vcc_lo, v144, v156
	s_wait_alu 0xfffd
	v_add_co_ci_u32_e32 v115, vcc_lo, v145, v157, vcc_lo
	v_add_co_u32 v120, vcc_lo, v144, v158
	s_wait_alu 0xfffd
	v_add_co_ci_u32_e32 v121, vcc_lo, v145, v159, vcc_lo
	s_clause 0x17
	global_store_b128 v[197:198], v[52:55], off
	global_store_b128 v[140:141], v[48:51], off
	;; [unrolled: 1-line block ×24, first 2 shown]
	s_and_b32 exec_lo, exec_lo, s0
	s_cbranch_execz .LBB0_20
; %bb.19:
	v_mul_i32_i24_e32 v174, 3, v205
	v_add_nc_u32_e32 v29, 0x28a, v188
	v_add_nc_u32_e32 v31, 0x52e, v188
	s_delay_alu instid0(VALU_DEP_3) | instskip(NEXT) | instid1(VALU_DEP_3)
	v_lshlrev_b64_e32 v[0:1], 4, v[174:175]
	v_mad_co_u64_u32 v[22:23], null, s8, v29, 0
	v_add_nc_u32_e32 v30, 0x3dc, v188
	s_delay_alu instid0(VALU_DEP_4) | instskip(NEXT) | instid1(VALU_DEP_4)
	v_mad_co_u64_u32 v[26:27], null, s8, v31, 0
	v_add_co_u32 v8, vcc_lo, s4, v0
	s_wait_alu 0xfffd
	v_add_co_ci_u32_e32 v9, vcc_lo, s5, v1, vcc_lo
	s_clause 0x2
	global_load_b128 v[0:3], v[8:9], off offset:5376
	global_load_b128 v[4:7], v[8:9], off offset:5392
	;; [unrolled: 1-line block ×3, first 2 shown]
	s_clause 0x1
	scratch_load_b64 v[18:19], off, off th:TH_LOAD_LU
	scratch_load_b64 v[20:21], off, off offset:8 th:TH_LOAD_LU
	s_wait_loadcnt 0x4
	v_mul_f64_e32 v[12:13], v[168:169], v[2:3]
	v_mul_f64_e32 v[2:3], v[148:149], v[2:3]
	s_wait_loadcnt 0x3
	v_mul_f64_e32 v[14:15], v[170:171], v[6:7]
	s_wait_loadcnt 0x1
	v_mul_f64_e32 v[6:7], v[18:19], v[6:7]
	v_mul_f64_e32 v[16:17], v[172:173], v[10:11]
	s_wait_loadcnt 0x0
	v_mul_f64_e32 v[10:11], v[20:21], v[10:11]
	v_fma_f64 v[12:13], v[148:149], v[0:1], -v[12:13]
	v_fma_f64 v[0:1], v[168:169], v[0:1], v[2:3]
	v_fma_f64 v[2:3], v[18:19], v[4:5], -v[14:15]
	v_fma_f64 v[4:5], v[170:171], v[4:5], v[6:7]
	;; [unrolled: 2-line block ×3, first 2 shown]
	s_delay_alu instid0(VALU_DEP_4) | instskip(NEXT) | instid1(VALU_DEP_4)
	v_add_f64_e64 v[10:11], v[146:147], -v[2:3]
	v_add_f64_e64 v[16:17], v[166:167], -v[4:5]
	s_delay_alu instid0(VALU_DEP_4) | instskip(NEXT) | instid1(VALU_DEP_4)
	v_add_f64_e64 v[2:3], v[12:13], -v[6:7]
	v_add_f64_e64 v[4:5], v[0:1], -v[8:9]
	s_delay_alu instid0(VALU_DEP_4) | instskip(NEXT) | instid1(VALU_DEP_4)
	v_fma_f64 v[14:15], v[146:147], 2.0, -v[10:11]
	v_fma_f64 v[18:19], v[166:167], 2.0, -v[16:17]
	s_delay_alu instid0(VALU_DEP_4) | instskip(NEXT) | instid1(VALU_DEP_4)
	v_fma_f64 v[6:7], v[12:13], 2.0, -v[2:3]
	v_fma_f64 v[8:9], v[0:1], 2.0, -v[4:5]
	v_add_f64_e64 v[0:1], v[10:11], -v[4:5]
	v_add_f64_e32 v[2:3], v[16:17], v[2:3]
	s_delay_alu instid0(VALU_DEP_4) | instskip(NEXT) | instid1(VALU_DEP_4)
	v_add_f64_e64 v[4:5], v[14:15], -v[6:7]
	v_add_f64_e64 v[6:7], v[18:19], -v[8:9]
	v_add_nc_u32_e32 v9, 0x138, v188
	s_delay_alu instid0(VALU_DEP_1) | instskip(NEXT) | instid1(VALU_DEP_1)
	v_mad_co_u64_u32 v[20:21], null, s8, v9, 0
	v_dual_mov_b32 v8, v21 :: v_dual_mov_b32 v21, v23
	v_mad_co_u64_u32 v[24:25], null, s8, v30, 0
	s_delay_alu instid0(VALU_DEP_1) | instskip(SKIP_1) | instid1(VALU_DEP_4)
	v_mov_b32_e32 v23, v25
	v_mov_b32_e32 v25, v27
	v_mad_co_u64_u32 v[27:28], null, s9, v9, v[8:9]
	v_fma_f64 v[8:9], v[10:11], 2.0, -v[0:1]
	v_fma_f64 v[10:11], v[16:17], 2.0, -v[2:3]
	v_mad_co_u64_u32 v[16:17], null, s9, v29, v[21:22]
	s_delay_alu instid0(VALU_DEP_4)
	v_mov_b32_e32 v21, v27
	v_fma_f64 v[12:13], v[14:15], 2.0, -v[4:5]
	v_fma_f64 v[14:15], v[18:19], 2.0, -v[6:7]
	v_mad_co_u64_u32 v[17:18], null, s9, v30, v[23:24]
	v_mad_co_u64_u32 v[18:19], null, s9, v31, v[25:26]
	v_mov_b32_e32 v23, v16
	s_delay_alu instid0(VALU_DEP_3) | instskip(SKIP_1) | instid1(VALU_DEP_4)
	v_mov_b32_e32 v25, v17
	v_lshlrev_b64_e32 v[16:17], 4, v[20:21]
	v_mov_b32_e32 v27, v18
	s_delay_alu instid0(VALU_DEP_4) | instskip(NEXT) | instid1(VALU_DEP_4)
	v_lshlrev_b64_e32 v[18:19], 4, v[22:23]
	v_lshlrev_b64_e32 v[20:21], 4, v[24:25]
	s_delay_alu instid0(VALU_DEP_4)
	v_add_co_u32 v16, vcc_lo, v144, v16
	s_wait_alu 0xfffd
	v_add_co_ci_u32_e32 v17, vcc_lo, v145, v17, vcc_lo
	v_lshlrev_b64_e32 v[22:23], 4, v[26:27]
	v_add_co_u32 v18, vcc_lo, v144, v18
	s_wait_alu 0xfffd
	v_add_co_ci_u32_e32 v19, vcc_lo, v145, v19, vcc_lo
	v_add_co_u32 v20, vcc_lo, v144, v20
	s_wait_alu 0xfffd
	v_add_co_ci_u32_e32 v21, vcc_lo, v145, v21, vcc_lo
	;; [unrolled: 3-line block ×3, first 2 shown]
	s_clause 0x3
	global_store_b128 v[16:17], v[12:15], off
	global_store_b128 v[18:19], v[8:11], off
	;; [unrolled: 1-line block ×4, first 2 shown]
.LBB0_20:
	s_nop 0
	s_sendmsg sendmsg(MSG_DEALLOC_VGPRS)
	s_endpgm
	.section	.rodata,"a",@progbits
	.p2align	6, 0x0
	.amdhsa_kernel fft_rtc_fwd_len1352_factors_2_13_13_4_wgs_52_tpt_52_halfLds_dp_ip_CI_sbrr_dirReg
		.amdhsa_group_segment_fixed_size 0
		.amdhsa_private_segment_fixed_size 20
		.amdhsa_kernarg_size 88
		.amdhsa_user_sgpr_count 2
		.amdhsa_user_sgpr_dispatch_ptr 0
		.amdhsa_user_sgpr_queue_ptr 0
		.amdhsa_user_sgpr_kernarg_segment_ptr 1
		.amdhsa_user_sgpr_dispatch_id 0
		.amdhsa_user_sgpr_private_segment_size 0
		.amdhsa_wavefront_size32 1
		.amdhsa_uses_dynamic_stack 0
		.amdhsa_enable_private_segment 1
		.amdhsa_system_sgpr_workgroup_id_x 1
		.amdhsa_system_sgpr_workgroup_id_y 0
		.amdhsa_system_sgpr_workgroup_id_z 0
		.amdhsa_system_sgpr_workgroup_info 0
		.amdhsa_system_vgpr_workitem_id 0
		.amdhsa_next_free_vgpr 256
		.amdhsa_next_free_sgpr 46
		.amdhsa_reserve_vcc 1
		.amdhsa_float_round_mode_32 0
		.amdhsa_float_round_mode_16_64 0
		.amdhsa_float_denorm_mode_32 3
		.amdhsa_float_denorm_mode_16_64 3
		.amdhsa_fp16_overflow 0
		.amdhsa_workgroup_processor_mode 1
		.amdhsa_memory_ordered 1
		.amdhsa_forward_progress 0
		.amdhsa_round_robin_scheduling 0
		.amdhsa_exception_fp_ieee_invalid_op 0
		.amdhsa_exception_fp_denorm_src 0
		.amdhsa_exception_fp_ieee_div_zero 0
		.amdhsa_exception_fp_ieee_overflow 0
		.amdhsa_exception_fp_ieee_underflow 0
		.amdhsa_exception_fp_ieee_inexact 0
		.amdhsa_exception_int_div_zero 0
	.end_amdhsa_kernel
	.text
.Lfunc_end0:
	.size	fft_rtc_fwd_len1352_factors_2_13_13_4_wgs_52_tpt_52_halfLds_dp_ip_CI_sbrr_dirReg, .Lfunc_end0-fft_rtc_fwd_len1352_factors_2_13_13_4_wgs_52_tpt_52_halfLds_dp_ip_CI_sbrr_dirReg
                                        ; -- End function
	.section	.AMDGPU.csdata,"",@progbits
; Kernel info:
; codeLenInByte = 22876
; NumSgprs: 48
; NumVgprs: 256
; ScratchSize: 20
; MemoryBound: 1
; FloatMode: 240
; IeeeMode: 1
; LDSByteSize: 0 bytes/workgroup (compile time only)
; SGPRBlocks: 5
; VGPRBlocks: 31
; NumSGPRsForWavesPerEU: 48
; NumVGPRsForWavesPerEU: 256
; Occupancy: 5
; WaveLimiterHint : 1
; COMPUTE_PGM_RSRC2:SCRATCH_EN: 1
; COMPUTE_PGM_RSRC2:USER_SGPR: 2
; COMPUTE_PGM_RSRC2:TRAP_HANDLER: 0
; COMPUTE_PGM_RSRC2:TGID_X_EN: 1
; COMPUTE_PGM_RSRC2:TGID_Y_EN: 0
; COMPUTE_PGM_RSRC2:TGID_Z_EN: 0
; COMPUTE_PGM_RSRC2:TIDIG_COMP_CNT: 0
	.text
	.p2alignl 7, 3214868480
	.fill 96, 4, 3214868480
	.type	__hip_cuid_79d0bb5ac319b9f6,@object ; @__hip_cuid_79d0bb5ac319b9f6
	.section	.bss,"aw",@nobits
	.globl	__hip_cuid_79d0bb5ac319b9f6
__hip_cuid_79d0bb5ac319b9f6:
	.byte	0                               ; 0x0
	.size	__hip_cuid_79d0bb5ac319b9f6, 1

	.ident	"AMD clang version 19.0.0git (https://github.com/RadeonOpenCompute/llvm-project roc-6.4.0 25133 c7fe45cf4b819c5991fe208aaa96edf142730f1d)"
	.section	".note.GNU-stack","",@progbits
	.addrsig
	.addrsig_sym __hip_cuid_79d0bb5ac319b9f6
	.amdgpu_metadata
---
amdhsa.kernels:
  - .args:
      - .actual_access:  read_only
        .address_space:  global
        .offset:         0
        .size:           8
        .value_kind:     global_buffer
      - .offset:         8
        .size:           8
        .value_kind:     by_value
      - .actual_access:  read_only
        .address_space:  global
        .offset:         16
        .size:           8
        .value_kind:     global_buffer
      - .actual_access:  read_only
        .address_space:  global
        .offset:         24
        .size:           8
        .value_kind:     global_buffer
      - .offset:         32
        .size:           8
        .value_kind:     by_value
      - .actual_access:  read_only
        .address_space:  global
        .offset:         40
        .size:           8
        .value_kind:     global_buffer
      - .actual_access:  read_only
        .address_space:  global
        .offset:         48
        .size:           8
        .value_kind:     global_buffer
      - .offset:         56
        .size:           4
        .value_kind:     by_value
      - .actual_access:  read_only
        .address_space:  global
        .offset:         64
        .size:           8
        .value_kind:     global_buffer
      - .actual_access:  read_only
        .address_space:  global
        .offset:         72
        .size:           8
        .value_kind:     global_buffer
      - .address_space:  global
        .offset:         80
        .size:           8
        .value_kind:     global_buffer
    .group_segment_fixed_size: 0
    .kernarg_segment_align: 8
    .kernarg_segment_size: 88
    .language:       OpenCL C
    .language_version:
      - 2
      - 0
    .max_flat_workgroup_size: 52
    .name:           fft_rtc_fwd_len1352_factors_2_13_13_4_wgs_52_tpt_52_halfLds_dp_ip_CI_sbrr_dirReg
    .private_segment_fixed_size: 20
    .sgpr_count:     48
    .sgpr_spill_count: 0
    .symbol:         fft_rtc_fwd_len1352_factors_2_13_13_4_wgs_52_tpt_52_halfLds_dp_ip_CI_sbrr_dirReg.kd
    .uniform_work_group_size: 1
    .uses_dynamic_stack: false
    .vgpr_count:     256
    .vgpr_spill_count: 4
    .wavefront_size: 32
    .workgroup_processor_mode: 1
amdhsa.target:   amdgcn-amd-amdhsa--gfx1201
amdhsa.version:
  - 1
  - 2
...

	.end_amdgpu_metadata
